;; amdgpu-corpus repo=ROCm/rocFFT kind=compiled arch=gfx1201 opt=O3
	.text
	.amdgcn_target "amdgcn-amd-amdhsa--gfx1201"
	.amdhsa_code_object_version 6
	.protected	fft_rtc_back_len1275_factors_17_3_5_5_wgs_255_tpt_85_halfLds_half_op_CI_CI_sbrr_dirReg ; -- Begin function fft_rtc_back_len1275_factors_17_3_5_5_wgs_255_tpt_85_halfLds_half_op_CI_CI_sbrr_dirReg
	.globl	fft_rtc_back_len1275_factors_17_3_5_5_wgs_255_tpt_85_halfLds_half_op_CI_CI_sbrr_dirReg
	.p2align	8
	.type	fft_rtc_back_len1275_factors_17_3_5_5_wgs_255_tpt_85_halfLds_half_op_CI_CI_sbrr_dirReg,@function
fft_rtc_back_len1275_factors_17_3_5_5_wgs_255_tpt_85_halfLds_half_op_CI_CI_sbrr_dirReg: ; @fft_rtc_back_len1275_factors_17_3_5_5_wgs_255_tpt_85_halfLds_half_op_CI_CI_sbrr_dirReg
; %bb.0:
	s_clause 0x1
	s_load_b128 s[12:15], s[0:1], 0x18
	s_load_b128 s[8:11], s[0:1], 0x0
	v_mul_u32_u24_e32 v1, 0x304, v0
	v_mov_b32_e32 v9, 0
	v_mov_b32_e32 v7, 0
	v_mov_b32_e32 v8, 0
	s_load_b128 s[4:7], s[0:1], 0x58
	s_wait_kmcnt 0x0
	s_load_b64 s[18:19], s[12:13], 0x0
	s_load_b64 s[16:17], s[14:15], 0x0
	v_lshrrev_b32_e32 v1, 16, v1
	v_cmp_lt_u64_e64 s2, s[10:11], 2
	s_delay_alu instid0(VALU_DEP_2) | instskip(SKIP_2) | instid1(VALU_DEP_4)
	v_mad_co_u64_u32 v[5:6], null, ttmp9, 3, v[1:2]
	v_dual_mov_b32 v6, v9 :: v_dual_mov_b32 v1, v7
	v_mov_b32_e32 v2, v8
	s_and_b32 vcc_lo, exec_lo, s2
	s_delay_alu instid0(VALU_DEP_2)
	v_dual_mov_b32 v3, v5 :: v_dual_mov_b32 v4, v6
	s_cbranch_vccnz .LBB0_8
; %bb.1:
	s_load_b64 s[2:3], s[0:1], 0x10
	v_dual_mov_b32 v7, 0 :: v_dual_mov_b32 v12, v6
	v_dual_mov_b32 v8, 0 :: v_dual_mov_b32 v11, v5
	s_delay_alu instid0(VALU_DEP_2) | instskip(SKIP_2) | instid1(VALU_DEP_2)
	v_mov_b32_e32 v1, v7
	s_add_nc_u64 s[20:21], s[14:15], 8
	s_add_nc_u64 s[22:23], s[12:13], 8
	v_mov_b32_e32 v2, v8
	s_mov_b64 s[24:25], 1
	s_wait_kmcnt 0x0
	s_add_nc_u64 s[26:27], s[2:3], 8
	s_mov_b32 s3, 0
.LBB0_2:                                ; =>This Inner Loop Header: Depth=1
	s_load_b64 s[28:29], s[26:27], 0x0
                                        ; implicit-def: $vgpr3_vgpr4
	s_mov_b32 s2, exec_lo
	s_wait_kmcnt 0x0
	v_or_b32_e32 v10, s29, v12
	s_delay_alu instid0(VALU_DEP_1)
	v_cmpx_ne_u64_e32 0, v[9:10]
	s_wait_alu 0xfffe
	s_xor_b32 s30, exec_lo, s2
	s_cbranch_execz .LBB0_4
; %bb.3:                                ;   in Loop: Header=BB0_2 Depth=1
	s_cvt_f32_u32 s2, s28
	s_cvt_f32_u32 s31, s29
	s_sub_nc_u64 s[36:37], 0, s[28:29]
	s_wait_alu 0xfffe
	s_delay_alu instid0(SALU_CYCLE_1) | instskip(SKIP_1) | instid1(SALU_CYCLE_2)
	s_fmamk_f32 s2, s31, 0x4f800000, s2
	s_wait_alu 0xfffe
	v_s_rcp_f32 s2, s2
	s_delay_alu instid0(TRANS32_DEP_1) | instskip(SKIP_1) | instid1(SALU_CYCLE_2)
	s_mul_f32 s2, s2, 0x5f7ffffc
	s_wait_alu 0xfffe
	s_mul_f32 s31, s2, 0x2f800000
	s_wait_alu 0xfffe
	s_delay_alu instid0(SALU_CYCLE_2) | instskip(SKIP_1) | instid1(SALU_CYCLE_2)
	s_trunc_f32 s31, s31
	s_wait_alu 0xfffe
	s_fmamk_f32 s2, s31, 0xcf800000, s2
	s_cvt_u32_f32 s35, s31
	s_wait_alu 0xfffe
	s_delay_alu instid0(SALU_CYCLE_1) | instskip(SKIP_1) | instid1(SALU_CYCLE_2)
	s_cvt_u32_f32 s34, s2
	s_wait_alu 0xfffe
	s_mul_u64 s[38:39], s[36:37], s[34:35]
	s_wait_alu 0xfffe
	s_mul_hi_u32 s41, s34, s39
	s_mul_i32 s40, s34, s39
	s_mul_hi_u32 s2, s34, s38
	s_mul_i32 s33, s35, s38
	s_wait_alu 0xfffe
	s_add_nc_u64 s[40:41], s[2:3], s[40:41]
	s_mul_hi_u32 s31, s35, s38
	s_mul_hi_u32 s42, s35, s39
	s_add_co_u32 s2, s40, s33
	s_wait_alu 0xfffe
	s_add_co_ci_u32 s2, s41, s31
	s_mul_i32 s38, s35, s39
	s_add_co_ci_u32 s39, s42, 0
	s_wait_alu 0xfffe
	s_add_nc_u64 s[38:39], s[2:3], s[38:39]
	s_wait_alu 0xfffe
	v_add_co_u32 v3, s2, s34, s38
	s_delay_alu instid0(VALU_DEP_1) | instskip(SKIP_1) | instid1(VALU_DEP_1)
	s_cmp_lg_u32 s2, 0
	s_add_co_ci_u32 s35, s35, s39
	v_readfirstlane_b32 s34, v3
	s_wait_alu 0xfffe
	s_delay_alu instid0(VALU_DEP_1)
	s_mul_u64 s[36:37], s[36:37], s[34:35]
	s_wait_alu 0xfffe
	s_mul_hi_u32 s39, s34, s37
	s_mul_i32 s38, s34, s37
	s_mul_hi_u32 s2, s34, s36
	s_mul_i32 s33, s35, s36
	s_wait_alu 0xfffe
	s_add_nc_u64 s[38:39], s[2:3], s[38:39]
	s_mul_hi_u32 s31, s35, s36
	s_mul_hi_u32 s34, s35, s37
	s_wait_alu 0xfffe
	s_add_co_u32 s2, s38, s33
	s_add_co_ci_u32 s2, s39, s31
	s_mul_i32 s36, s35, s37
	s_add_co_ci_u32 s37, s34, 0
	s_wait_alu 0xfffe
	s_add_nc_u64 s[36:37], s[2:3], s[36:37]
	s_wait_alu 0xfffe
	v_add_co_u32 v6, s2, v3, s36
	s_delay_alu instid0(VALU_DEP_1) | instskip(SKIP_1) | instid1(VALU_DEP_1)
	s_cmp_lg_u32 s2, 0
	s_add_co_ci_u32 s2, s35, s37
	v_mul_hi_u32 v10, v11, v6
	s_wait_alu 0xfffe
	v_mad_co_u64_u32 v[3:4], null, v11, s2, 0
	v_mad_co_u64_u32 v[13:14], null, v12, v6, 0
	;; [unrolled: 1-line block ×3, first 2 shown]
	s_delay_alu instid0(VALU_DEP_3) | instskip(SKIP_1) | instid1(VALU_DEP_4)
	v_add_co_u32 v3, vcc_lo, v10, v3
	s_wait_alu 0xfffd
	v_add_co_ci_u32_e32 v4, vcc_lo, 0, v4, vcc_lo
	s_delay_alu instid0(VALU_DEP_2) | instskip(SKIP_1) | instid1(VALU_DEP_2)
	v_add_co_u32 v3, vcc_lo, v3, v13
	s_wait_alu 0xfffd
	v_add_co_ci_u32_e32 v3, vcc_lo, v4, v14, vcc_lo
	s_wait_alu 0xfffd
	v_add_co_ci_u32_e32 v4, vcc_lo, 0, v16, vcc_lo
	s_delay_alu instid0(VALU_DEP_2) | instskip(SKIP_1) | instid1(VALU_DEP_2)
	v_add_co_u32 v6, vcc_lo, v3, v15
	s_wait_alu 0xfffd
	v_add_co_ci_u32_e32 v10, vcc_lo, 0, v4, vcc_lo
	s_delay_alu instid0(VALU_DEP_2) | instskip(SKIP_1) | instid1(VALU_DEP_3)
	v_mul_lo_u32 v13, s29, v6
	v_mad_co_u64_u32 v[3:4], null, s28, v6, 0
	v_mul_lo_u32 v14, s28, v10
	s_delay_alu instid0(VALU_DEP_2) | instskip(NEXT) | instid1(VALU_DEP_2)
	v_sub_co_u32 v3, vcc_lo, v11, v3
	v_add3_u32 v4, v4, v14, v13
	s_delay_alu instid0(VALU_DEP_1) | instskip(SKIP_1) | instid1(VALU_DEP_1)
	v_sub_nc_u32_e32 v13, v12, v4
	s_wait_alu 0xfffd
	v_subrev_co_ci_u32_e64 v13, s2, s29, v13, vcc_lo
	v_add_co_u32 v14, s2, v6, 2
	s_wait_alu 0xf1ff
	v_add_co_ci_u32_e64 v15, s2, 0, v10, s2
	v_sub_co_u32 v16, s2, v3, s28
	v_sub_co_ci_u32_e32 v4, vcc_lo, v12, v4, vcc_lo
	s_wait_alu 0xf1ff
	v_subrev_co_ci_u32_e64 v13, s2, 0, v13, s2
	s_delay_alu instid0(VALU_DEP_3) | instskip(NEXT) | instid1(VALU_DEP_3)
	v_cmp_le_u32_e32 vcc_lo, s28, v16
	v_cmp_eq_u32_e64 s2, s29, v4
	s_wait_alu 0xfffd
	v_cndmask_b32_e64 v16, 0, -1, vcc_lo
	v_cmp_le_u32_e32 vcc_lo, s29, v13
	s_wait_alu 0xfffd
	v_cndmask_b32_e64 v17, 0, -1, vcc_lo
	v_cmp_le_u32_e32 vcc_lo, s28, v3
	;; [unrolled: 3-line block ×3, first 2 shown]
	s_wait_alu 0xfffd
	v_cndmask_b32_e64 v18, 0, -1, vcc_lo
	v_cmp_eq_u32_e32 vcc_lo, s29, v13
	s_wait_alu 0xf1ff
	s_delay_alu instid0(VALU_DEP_2)
	v_cndmask_b32_e64 v3, v18, v3, s2
	s_wait_alu 0xfffd
	v_cndmask_b32_e32 v13, v17, v16, vcc_lo
	v_add_co_u32 v16, vcc_lo, v6, 1
	s_wait_alu 0xfffd
	v_add_co_ci_u32_e32 v17, vcc_lo, 0, v10, vcc_lo
	s_delay_alu instid0(VALU_DEP_3) | instskip(SKIP_1) | instid1(VALU_DEP_2)
	v_cmp_ne_u32_e32 vcc_lo, 0, v13
	s_wait_alu 0xfffd
	v_dual_cndmask_b32 v4, v17, v15 :: v_dual_cndmask_b32 v13, v16, v14
	v_cmp_ne_u32_e32 vcc_lo, 0, v3
	s_wait_alu 0xfffd
	s_delay_alu instid0(VALU_DEP_2) | instskip(NEXT) | instid1(VALU_DEP_3)
	v_cndmask_b32_e32 v4, v10, v4, vcc_lo
	v_cndmask_b32_e32 v3, v6, v13, vcc_lo
.LBB0_4:                                ;   in Loop: Header=BB0_2 Depth=1
	s_wait_alu 0xfffe
	s_and_not1_saveexec_b32 s2, s30
	s_cbranch_execz .LBB0_6
; %bb.5:                                ;   in Loop: Header=BB0_2 Depth=1
	v_cvt_f32_u32_e32 v3, s28
	s_sub_co_i32 s30, 0, s28
	s_delay_alu instid0(VALU_DEP_1) | instskip(NEXT) | instid1(TRANS32_DEP_1)
	v_rcp_iflag_f32_e32 v3, v3
	v_mul_f32_e32 v3, 0x4f7ffffe, v3
	s_delay_alu instid0(VALU_DEP_1) | instskip(SKIP_1) | instid1(VALU_DEP_1)
	v_cvt_u32_f32_e32 v3, v3
	s_wait_alu 0xfffe
	v_mul_lo_u32 v4, s30, v3
	s_delay_alu instid0(VALU_DEP_1) | instskip(NEXT) | instid1(VALU_DEP_1)
	v_mul_hi_u32 v4, v3, v4
	v_add_nc_u32_e32 v3, v3, v4
	s_delay_alu instid0(VALU_DEP_1) | instskip(NEXT) | instid1(VALU_DEP_1)
	v_mul_hi_u32 v3, v11, v3
	v_mul_lo_u32 v4, v3, s28
	v_add_nc_u32_e32 v6, 1, v3
	s_delay_alu instid0(VALU_DEP_2) | instskip(NEXT) | instid1(VALU_DEP_1)
	v_sub_nc_u32_e32 v4, v11, v4
	v_subrev_nc_u32_e32 v10, s28, v4
	v_cmp_le_u32_e32 vcc_lo, s28, v4
	s_wait_alu 0xfffd
	s_delay_alu instid0(VALU_DEP_2) | instskip(SKIP_1) | instid1(VALU_DEP_2)
	v_cndmask_b32_e32 v4, v4, v10, vcc_lo
	v_cndmask_b32_e32 v3, v3, v6, vcc_lo
	v_cmp_le_u32_e32 vcc_lo, s28, v4
	v_mov_b32_e32 v4, v9
	s_delay_alu instid0(VALU_DEP_3) | instskip(SKIP_1) | instid1(VALU_DEP_1)
	v_add_nc_u32_e32 v6, 1, v3
	s_wait_alu 0xfffd
	v_cndmask_b32_e32 v3, v3, v6, vcc_lo
.LBB0_6:                                ;   in Loop: Header=BB0_2 Depth=1
	s_wait_alu 0xfffe
	s_or_b32 exec_lo, exec_lo, s2
	v_mul_lo_u32 v6, v4, s28
	s_delay_alu instid0(VALU_DEP_2)
	v_mul_lo_u32 v10, v3, s29
	s_load_b64 s[30:31], s[22:23], 0x0
	v_mad_co_u64_u32 v[13:14], null, v3, s28, 0
	s_load_b64 s[28:29], s[20:21], 0x0
	s_add_nc_u64 s[24:25], s[24:25], 1
	s_add_nc_u64 s[20:21], s[20:21], 8
	s_wait_alu 0xfffe
	v_cmp_ge_u64_e64 s2, s[24:25], s[10:11]
	s_add_nc_u64 s[22:23], s[22:23], 8
	s_add_nc_u64 s[26:27], s[26:27], 8
	v_add3_u32 v6, v14, v10, v6
	v_sub_co_u32 v10, vcc_lo, v11, v13
	s_wait_alu 0xfffd
	s_delay_alu instid0(VALU_DEP_2) | instskip(SKIP_2) | instid1(VALU_DEP_1)
	v_sub_co_ci_u32_e32 v6, vcc_lo, v12, v6, vcc_lo
	s_and_b32 vcc_lo, exec_lo, s2
	s_wait_kmcnt 0x0
	v_mul_lo_u32 v11, s30, v6
	v_mul_lo_u32 v12, s31, v10
	v_mad_co_u64_u32 v[7:8], null, s30, v10, v[7:8]
	v_mul_lo_u32 v6, s28, v6
	v_mul_lo_u32 v13, s29, v10
	v_mad_co_u64_u32 v[1:2], null, s28, v10, v[1:2]
	s_delay_alu instid0(VALU_DEP_4) | instskip(NEXT) | instid1(VALU_DEP_2)
	v_add3_u32 v8, v12, v8, v11
	v_add3_u32 v2, v13, v2, v6
	s_wait_alu 0xfffe
	s_cbranch_vccnz .LBB0_8
; %bb.7:                                ;   in Loop: Header=BB0_2 Depth=1
	v_dual_mov_b32 v12, v4 :: v_dual_mov_b32 v11, v3
	s_branch .LBB0_2
.LBB0_8:
	s_load_b64 s[0:1], s[0:1], 0x28
	v_mul_hi_u32 v6, 0x3030304, v0
	s_lshl_b64 s[2:3], s[10:11], 3
                                        ; implicit-def: $vgpr49
                                        ; implicit-def: $vgpr10
                                        ; implicit-def: $vgpr48
                                        ; implicit-def: $vgpr12
                                        ; implicit-def: $vgpr47
                                        ; implicit-def: $vgpr28
                                        ; implicit-def: $vgpr46
                                        ; implicit-def: $vgpr29
                                        ; implicit-def: $vgpr45
                                        ; implicit-def: $vgpr30
                                        ; implicit-def: $vgpr43
                                        ; implicit-def: $vgpr31
                                        ; implicit-def: $vgpr42
                                        ; implicit-def: $vgpr32
                                        ; implicit-def: $vgpr38
                                        ; implicit-def: $vgpr44
                                        ; implicit-def: $vgpr33
                                        ; implicit-def: $vgpr57
                                        ; implicit-def: $vgpr34
                                        ; implicit-def: $vgpr56
                                        ; implicit-def: $vgpr35
                                        ; implicit-def: $vgpr55
                                        ; implicit-def: $vgpr36
                                        ; implicit-def: $vgpr54
                                        ; implicit-def: $vgpr37
                                        ; implicit-def: $vgpr53
                                        ; implicit-def: $vgpr39
                                        ; implicit-def: $vgpr52
                                        ; implicit-def: $vgpr40
                                        ; implicit-def: $vgpr51
                                        ; implicit-def: $vgpr41
                                        ; implicit-def: $vgpr50
	v_mov_b32_e32 v9, 0
	s_delay_alu instid0(VALU_DEP_2) | instskip(NEXT) | instid1(VALU_DEP_1)
	v_mul_u32_u24_e32 v6, 0x55, v6
	v_sub_nc_u32_e32 v0, v0, v6
	v_mov_b32_e32 v6, 0
	s_wait_kmcnt 0x0
	v_cmp_gt_u64_e32 vcc_lo, s[0:1], v[3:4]
	s_delay_alu instid0(VALU_DEP_3) | instskip(NEXT) | instid1(VALU_DEP_1)
	v_cmp_gt_u32_e64 s0, 0x4b, v0
	s_and_b32 s1, vcc_lo, s0
	s_wait_alu 0xfffe
	s_and_saveexec_b32 s10, s1
	s_cbranch_execz .LBB0_10
; %bb.9:
	s_add_nc_u64 s[12:13], s[12:13], s[2:3]
	v_mad_co_u64_u32 v[9:10], null, s18, v0, 0
	s_load_b64 s[12:13], s[12:13], 0x0
	v_add_nc_u32_e32 v22, 0x4b, v0
	v_add_nc_u32_e32 v24, 0x96, v0
	;; [unrolled: 1-line block ×3, first 2 shown]
	v_lshlrev_b64_e32 v[6:7], 2, v[7:8]
	v_add_nc_u32_e32 v26, 0x12c, v0
	v_mad_co_u64_u32 v[11:12], null, s18, v22, 0
	v_mad_co_u64_u32 v[13:14], null, s18, v24, 0
	v_mov_b32_e32 v8, v10
	v_mad_co_u64_u32 v[15:16], null, s18, v25, 0
	v_add_nc_u32_e32 v27, 0x20d, v0
	v_add_nc_u32_e32 v35, 0x2ee, v0
	s_delay_alu instid0(VALU_DEP_4)
	v_mad_co_u64_u32 v[19:20], null, s19, v0, v[8:9]
	v_mov_b32_e32 v8, v12
	v_mov_b32_e32 v12, v14
	;; [unrolled: 1-line block ×3, first 2 shown]
	s_wait_kmcnt 0x0
	v_mul_lo_u32 v10, s13, v3
	v_mul_lo_u32 v23, s12, v4
	v_mad_co_u64_u32 v[17:18], null, s12, v3, 0
	v_mad_co_u64_u32 v[20:21], null, s18, v26, 0
	s_delay_alu instid0(VALU_DEP_2) | instskip(SKIP_1) | instid1(VALU_DEP_2)
	v_add3_u32 v18, v18, v23, v10
	v_mov_b32_e32 v10, v19
	v_lshlrev_b64_e32 v[16:17], 2, v[17:18]
	v_mad_co_u64_u32 v[18:19], null, s19, v25, v[14:15]
	v_add_nc_u32_e32 v25, 0x1c2, v0
	v_mad_co_u64_u32 v[22:23], null, s19, v22, v[8:9]
	v_mad_co_u64_u32 v[23:24], null, s19, v24, v[12:13]
	v_lshlrev_b64_e32 v[8:9], 2, v[9:10]
	v_add_co_u32 v10, s1, s4, v16
	s_wait_alu 0xf1ff
	v_add_co_ci_u32_e64 v16, s1, s5, v17, s1
	v_mov_b32_e32 v12, v22
	v_mov_b32_e32 v14, v23
	v_add_nc_u32_e32 v22, 0x177, v0
	v_add_co_u32 v39, s1, v10, v6
	s_wait_alu 0xf1ff
	v_add_co_ci_u32_e64 v40, s1, v16, v7, s1
	v_lshlrev_b64_e32 v[6:7], 2, v[11:12]
	v_lshlrev_b64_e32 v[10:11], 2, v[13:14]
	v_mad_co_u64_u32 v[13:14], null, s18, v22, 0
	v_mov_b32_e32 v12, v21
	v_add_co_u32 v8, s1, v39, v8
	s_wait_alu 0xf1ff
	v_add_co_ci_u32_e64 v9, s1, v40, v9, s1
	v_add_co_u32 v6, s1, v39, v6
	v_mov_b32_e32 v16, v18
	v_mad_co_u64_u32 v[17:18], null, s19, v26, v[12:13]
	s_wait_alu 0xf1ff
	v_add_co_ci_u32_e64 v7, s1, v40, v7, s1
	v_add_co_u32 v18, s1, v39, v10
	v_mov_b32_e32 v12, v14
	s_wait_alu 0xf1ff
	v_add_co_ci_u32_e64 v19, s1, v40, v11, s1
	v_lshlrev_b64_e32 v[10:11], 2, v[15:16]
	v_mad_co_u64_u32 v[15:16], null, s18, v25, 0
	v_mov_b32_e32 v21, v17
	v_mad_co_u64_u32 v[22:23], null, s19, v22, v[12:13]
	s_delay_alu instid0(VALU_DEP_4)
	v_add_co_u32 v23, s1, v39, v10
	s_wait_alu 0xf1ff
	v_add_co_ci_u32_e64 v24, s1, v40, v11, s1
	v_lshlrev_b64_e32 v[10:11], 2, v[20:21]
	v_mov_b32_e32 v12, v16
	v_mad_co_u64_u32 v[20:21], null, s18, v27, 0
	v_mov_b32_e32 v14, v22
	s_delay_alu instid0(VALU_DEP_3)
	v_mad_co_u64_u32 v[16:17], null, s19, v25, v[12:13]
	v_add_co_u32 v25, s1, v39, v10
	s_wait_alu 0xf1ff
	v_add_co_ci_u32_e64 v26, s1, v40, v11, s1
	v_lshlrev_b64_e32 v[11:12], 2, v[13:14]
	v_dual_mov_b32 v10, v21 :: v_dual_add_nc_u32 v17, 0x258, v0
	s_delay_alu instid0(VALU_DEP_1) | instskip(NEXT) | instid1(VALU_DEP_2)
	v_mad_co_u64_u32 v[13:14], null, s19, v27, v[10:11]
	v_mad_co_u64_u32 v[33:34], null, s18, v17, 0
	v_add_nc_u32_e32 v27, 0x2a3, v0
	v_add_co_u32 v30, s1, v39, v11
	s_wait_alu 0xf1ff
	v_add_co_ci_u32_e64 v31, s1, v40, v12, s1
	v_mov_b32_e32 v21, v13
	v_mad_co_u64_u32 v[13:14], null, s18, v27, 0
	v_lshlrev_b64_e32 v[10:11], 2, v[15:16]
	v_mov_b32_e32 v12, v34
	s_delay_alu instid0(VALU_DEP_4) | instskip(NEXT) | instid1(VALU_DEP_2)
	v_lshlrev_b64_e32 v[15:16], 2, v[20:21]
	v_mad_co_u64_u32 v[20:21], null, s19, v17, v[12:13]
	s_delay_alu instid0(VALU_DEP_4) | instskip(SKIP_4) | instid1(VALU_DEP_3)
	v_add_co_u32 v21, s1, v39, v10
	v_mov_b32_e32 v10, v14
	s_wait_alu 0xf1ff
	v_add_co_ci_u32_e64 v22, s1, v40, v11, s1
	v_add_co_u32 v14, s1, v39, v15
	v_mad_co_u64_u32 v[11:12], null, s19, v27, v[10:11]
	s_wait_alu 0xf1ff
	v_add_co_ci_u32_e64 v15, s1, v40, v16, s1
	s_clause 0x7
	global_load_b32 v9, v[8:9], off
	global_load_b32 v10, v[6:7], off
	;; [unrolled: 1-line block ×8, first 2 shown]
	v_mad_co_u64_u32 v[16:17], null, s18, v35, 0
	v_dual_mov_b32 v34, v20 :: v_dual_add_nc_u32 v27, 0x339, v0
	v_dual_mov_b32 v14, v11 :: v_dual_add_nc_u32 v11, 0x384, v0
	s_delay_alu instid0(VALU_DEP_2) | instskip(NEXT) | instid1(VALU_DEP_4)
	v_mad_co_u64_u32 v[18:19], null, s18, v27, 0
	v_mov_b32_e32 v8, v17
	s_delay_alu instid0(VALU_DEP_4) | instskip(NEXT) | instid1(VALU_DEP_4)
	v_lshlrev_b64_e32 v[6:7], 2, v[33:34]
	v_lshlrev_b64_e32 v[13:14], 2, v[13:14]
	s_delay_alu instid0(VALU_DEP_2) | instskip(SKIP_1) | instid1(VALU_DEP_3)
	v_add_co_u32 v6, s1, v39, v6
	s_wait_alu 0xf1ff
	v_add_co_ci_u32_e64 v7, s1, v40, v7, s1
	s_delay_alu instid0(VALU_DEP_3)
	v_add_co_u32 v13, s1, v39, v13
	s_wait_alu 0xf1ff
	v_add_co_ci_u32_e64 v14, s1, v40, v14, s1
	s_wait_loadcnt 0x7
	v_mad_co_u64_u32 v[20:21], null, s19, v35, v[8:9]
	v_dual_mov_b32 v8, v19 :: v_dual_add_nc_u32 v35, 0x41a, v0
	s_wait_loadcnt 0x6
	v_lshrrev_b32_e32 v49, 16, v10
	s_wait_loadcnt 0x5
	v_lshrrev_b32_e32 v48, 16, v12
	;; [unrolled: 2-line block ×4, first 2 shown]
	v_mov_b32_e32 v17, v20
	v_mad_co_u64_u32 v[19:20], null, s19, v27, v[8:9]
	v_mad_co_u64_u32 v[20:21], null, s18, v11, 0
	v_add_nc_u32_e32 v27, 0x3cf, v0
	s_delay_alu instid0(VALU_DEP_4)
	v_lshlrev_b64_e32 v[15:16], 2, v[16:17]
	s_wait_loadcnt 0x2
	v_lshrrev_b32_e32 v45, 16, v30
	s_wait_loadcnt 0x1
	v_lshrrev_b32_e32 v43, 16, v31
	v_lshlrev_b64_e32 v[17:18], 2, v[18:19]
	v_mad_co_u64_u32 v[22:23], null, s18, v27, 0
	v_mov_b32_e32 v8, v21
	v_add_co_u32 v15, s1, v39, v15
	s_wait_alu 0xf1ff
	v_add_co_ci_u32_e64 v16, s1, v40, v16, s1
	s_delay_alu instid0(VALU_DEP_3)
	v_mad_co_u64_u32 v[24:25], null, s19, v11, v[8:9]
	v_add_nc_u32_e32 v11, 0x465, v0
	v_mad_co_u64_u32 v[25:26], null, s18, v35, 0
	v_mov_b32_e32 v8, v23
	v_add_co_u32 v17, s1, v39, v17
	v_mov_b32_e32 v21, v24
	v_mad_co_u64_u32 v[33:34], null, s18, v11, 0
	s_delay_alu instid0(VALU_DEP_4)
	v_mad_co_u64_u32 v[23:24], null, s19, v27, v[8:9]
	v_mov_b32_e32 v8, v26
	v_add_nc_u32_e32 v24, 0x4b0, v0
	v_lshlrev_b64_e32 v[19:20], 2, v[20:21]
	s_wait_alu 0xf1ff
	v_add_co_ci_u32_e64 v18, s1, v40, v18, s1
	v_mad_co_u64_u32 v[26:27], null, s19, v35, v[8:9]
	v_mad_co_u64_u32 v[35:36], null, s18, v24, 0
	v_mov_b32_e32 v8, v34
	v_lshlrev_b64_e32 v[21:22], 2, v[22:23]
	v_add_co_u32 v19, s1, v39, v19
	s_wait_alu 0xf1ff
	v_add_co_ci_u32_e64 v20, s1, v40, v20, s1
	v_mad_co_u64_u32 v[37:38], null, s19, v11, v[8:9]
	v_mov_b32_e32 v8, v36
	v_add_co_u32 v21, s1, v39, v21
	s_wait_alu 0xf1ff
	v_add_co_ci_u32_e64 v22, s1, v40, v22, s1
	s_delay_alu instid0(VALU_DEP_3) | instskip(SKIP_4) | instid1(VALU_DEP_3)
	v_mad_co_u64_u32 v[23:24], null, s19, v24, v[8:9]
	v_mov_b32_e32 v34, v37
	v_lshlrev_b64_e32 v[24:25], 2, v[25:26]
	s_wait_loadcnt 0x0
	v_lshrrev_b32_e32 v42, 16, v32
	v_lshlrev_b64_e32 v[26:27], 2, v[33:34]
	v_mov_b32_e32 v36, v23
	s_delay_alu instid0(VALU_DEP_4) | instskip(SKIP_2) | instid1(VALU_DEP_3)
	v_add_co_u32 v23, s1, v39, v24
	s_wait_alu 0xf1ff
	v_add_co_ci_u32_e64 v24, s1, v40, v25, s1
	v_lshlrev_b64_e32 v[33:34], 2, v[35:36]
	v_add_co_u32 v25, s1, v39, v26
	s_wait_alu 0xf1ff
	v_add_co_ci_u32_e64 v26, s1, v40, v27, s1
	s_delay_alu instid0(VALU_DEP_3)
	v_add_co_u32 v33, s1, v39, v33
	s_wait_alu 0xf1ff
	v_add_co_ci_u32_e64 v34, s1, v40, v34, s1
	s_clause 0x8
	global_load_b32 v44, v[6:7], off
	global_load_b32 v50, v[13:14], off
	;; [unrolled: 1-line block ×9, first 2 shown]
	v_lshrrev_b32_e32 v6, 16, v9
	s_wait_loadcnt 0x8
	v_lshrrev_b32_e32 v38, 16, v44
	s_wait_loadcnt 0x7
	;; [unrolled: 2-line block ×9, first 2 shown]
	v_lshrrev_b32_e32 v33, 16, v57
.LBB0_10:
	s_wait_alu 0xfffe
	s_or_b32 exec_lo, exec_lo, s10
	v_mul_hi_u32 v7, 0xaaaaaaab, v5
	s_delay_alu instid0(VALU_DEP_1) | instskip(NEXT) | instid1(VALU_DEP_1)
	v_lshrrev_b32_e32 v7, 1, v7
	v_lshl_add_u32 v7, v7, 1, v7
	s_delay_alu instid0(VALU_DEP_1) | instskip(NEXT) | instid1(VALU_DEP_1)
	v_sub_nc_u32_e32 v5, v5, v7
	v_mul_u32_u24_e32 v5, 0x4fb, v5
	s_delay_alu instid0(VALU_DEP_1)
	v_lshlrev_b32_e32 v11, 1, v5
	s_and_saveexec_b32 s1, s0
	s_cbranch_execz .LBB0_12
; %bb.11:
	v_sub_f16_e32 v8, v49, v33
	v_add_f16_e32 v7, v10, v57
	v_sub_f16_e32 v15, v48, v34
	v_mul_u32_u24_e32 v13, 34, v0
	v_add_f16_e32 v16, v12, v56
	v_pk_mul_f16 v60, 0xb964b5c8, v8 op_sel_hi:[1,0]
	v_sub_f16_e32 v18, v47, v35
	v_pk_mul_f16 v61, 0xbbf7b964, v15 op_sel_hi:[1,0]
	v_add3_u32 v59, 0, v13, v11
	v_add_f16_e32 v17, v28, v55
	v_pk_fma_f16 v13, 0x39e93b76, v7, v60 op_sel_hi:[1,0,1]
	v_sub_f16_e32 v20, v46, v36
	v_pk_mul_f16 v62, 0xba62bb29, v18 op_sel_hi:[1,0]
	v_pk_fma_f16 v14, 0x2de839e9, v16, v61 op_sel_hi:[1,0,1]
	v_add_f16_e32 v19, v29, v54
	v_pk_add_f16 v13, v9, v13 op_sel_hi:[0,1]
	v_sub_f16_e32 v22, v45, v37
	v_pk_mul_f16 v63, 0xb1e1bbf7, v20 op_sel_hi:[1,0]
	v_pk_mul_f16 v68, 0xbbf7bb29, v8 op_sel_hi:[1,0]
	v_pk_fma_f16 v76, 0xb8d23722, v17, v62 op_sel_hi:[1,0,1]
	v_pk_add_f16 v13, v13, v14
	v_add_f16_e32 v21, v30, v53
	v_sub_f16_e32 v24, v43, v39
	v_pk_mul_f16 v64, 0x3836bbb2, v22 op_sel_hi:[1,0]
	v_pk_mul_f16 v69, 0xb1e1ba62, v15 op_sel_hi:[1,0]
	v_pk_fma_f16 v77, 0x2de83722, v7, v68 op_sel_hi:[1,0,1]
	v_pk_fma_f16 v14, 0xbbdd2de8, v19, v63 op_sel_hi:[1,0,1]
	v_pk_add_f16 v13, v13, v76
	v_add_f16_e32 v23, v31, v52
	v_sub_f16_e32 v26, v42, v40
	v_pk_mul_f16 v65, 0x3bb2ba62, v24 op_sel_hi:[1,0]
	v_pk_mul_f16 v70, 0x3bb231e1, v18 op_sel_hi:[1,0]
	v_pk_fma_f16 v78, 0xbbddb8d2, v16, v69 op_sel_hi:[1,0,1]
	v_pk_add_f16 v77, v9, v77 op_sel_hi:[0,1]
	v_pk_fma_f16 v76, 0xbacdb461, v21, v64 op_sel_hi:[1,0,1]
	v_pk_add_f16 v13, v13, v14
	v_add_f16_e32 v25, v32, v51
	v_pk_mul_f16 v66, 0x3b29b836, v26 op_sel_hi:[1,0]
	v_pk_mul_f16 v71, 0x35c83bb2, v20 op_sel_hi:[1,0]
	v_pk_fma_f16 v79, 0xb461bbdd, v17, v70 op_sel_hi:[1,0,1]
	v_pk_add_f16 v77, v77, v78
	v_pk_fma_f16 v14, 0xb461b8d2, v23, v65 op_sel_hi:[1,0,1]
	v_pk_add_f16 v13, v13, v76
	v_pk_mul_f16 v72, 0xbb293964, v22 op_sel_hi:[1,0]
	v_pk_mul_f16 v75, 0xba62bbb2, v8 op_sel_hi:[1,0]
	v_pk_fma_f16 v78, 0x3b76b461, v19, v71 op_sel_hi:[1,0,1]
	v_pk_add_f16 v77, v77, v79
	v_pk_fma_f16 v76, 0x3722bacd, v25, v66 op_sel_hi:[1,0,1]
	v_pk_add_f16 v13, v13, v14
	v_pk_mul_f16 v73, 0xb836b5c8, v24 op_sel_hi:[1,0]
	v_pk_fma_f16 v79, 0x372239e9, v21, v72 op_sel_hi:[1,0,1]
	v_pk_add_f16 v77, v77, v78
	v_pk_fma_f16 v78, 0xb8d2b461, v7, v75 op_sel_hi:[1,0,1]
	v_pk_add_f16 v13, v13, v76
	v_pk_mul_f16 v76, 0x3bb23836, v15 op_sel_hi:[1,0]
	v_sub_f16_e32 v58, v38, v41
	v_pk_mul_f16 v74, 0x3a62bbf7, v26 op_sel_hi:[1,0]
	v_pk_fma_f16 v14, 0xbacd3b76, v23, v73 op_sel_hi:[1,0,1]
	v_pk_add_f16 v77, v77, v79
	v_pk_add_f16 v78, v9, v78 op_sel_hi:[0,1]
	v_pk_fma_f16 v80, 0xb461bacd, v16, v76 op_sel_hi:[1,0,1]
	v_pk_mul_f16 v81, 0xb5c83964, v18 op_sel_hi:[1,0]
	v_add_f16_e32 v27, v44, v50
	v_pk_mul_f16 v79, 0x3964b836, v58 op_sel_hi:[1,0]
	v_pk_add_f16 v14, v77, v14
	v_pk_fma_f16 v77, 0xb8d22de8, v25, v74 op_sel_hi:[1,0,1]
	v_pk_add_f16 v78, v78, v80
	v_pk_fma_f16 v80, 0x3b7639e9, v17, v81 op_sel_hi:[1,0,1]
	v_pk_mul_f16 v83, 0xb836bb29, v20 op_sel_hi:[1,0]
	v_pk_mul_f16 v8, 0xb1e1b836, v8 op_sel_hi:[1,0]
	v_pk_add_f16 v14, v14, v77
	v_pk_fma_f16 v77, 0x39e9bacd, v27, v79 op_sel_hi:[1,0,1]
	v_pk_add_f16 v78, v78, v80
	v_pk_fma_f16 v80, 0xbacd3722, v19, v83 op_sel_hi:[1,0,1]
	v_pk_mul_f16 v67, 0x35c8b1e1, v58 op_sel_hi:[1,0]
	v_pk_mul_f16 v15, 0x35c83b29, v15 op_sel_hi:[1,0]
	v_pk_add_f16 v14, v14, v77
	v_pk_mul_f16 v77, 0x3bf7b1e1, v22 op_sel_hi:[1,0]
	v_pk_add_f16 v78, v78, v80
	v_pk_fma_f16 v80, 0xbbddbacd, v7, v8 op_sel_hi:[1,0,1]
	v_add_f16_e32 v5, v9, v10
	v_pk_fma_f16 v82, 0x3b76bbdd, v27, v67 op_sel_hi:[1,0,1]
	v_pk_fma_f16 v8, 0xbbddbacd, v7, v8 op_sel_hi:[1,0,1] neg_lo:[0,0,1] neg_hi:[0,0,1]
	v_pk_fma_f16 v86, 0x2de8bbdd, v21, v77 op_sel_hi:[1,0,1]
	v_pk_mul_f16 v18, 0xb836bbf7, v18 op_sel_hi:[1,0]
	v_pk_add_f16 v80, v9, v80 op_sel_hi:[0,1]
	v_pk_fma_f16 v87, 0x3b763722, v16, v15 op_sel_hi:[1,0,1]
	v_add_f16_e32 v5, v5, v12
	v_pk_add_f16 v13, v13, v82
	v_pk_mul_f16 v82, 0xb9643bf7, v24 op_sel_hi:[1,0]
	v_pk_add_f16 v8, v9, v8 op_sel_hi:[0,1]
	v_pk_fma_f16 v15, 0x3b763722, v16, v15 op_sel_hi:[1,0,1] neg_lo:[0,0,1] neg_hi:[0,0,1]
	v_pk_add_f16 v78, v78, v86
	v_pk_mul_f16 v20, 0x39643a62, v20 op_sel_hi:[1,0]
	v_pk_add_f16 v80, v80, v87
	v_pk_fma_f16 v86, 0xbacd2de8, v17, v18 op_sel_hi:[1,0,1]
	v_add_f16_e32 v5, v5, v28
	v_pk_add_f16 v8, v8, v15
	v_pk_fma_f16 v15, 0xbacd2de8, v17, v18 op_sel_hi:[1,0,1] neg_lo:[0,0,1] neg_hi:[0,0,1]
	v_pk_fma_f16 v18, 0x39e92de8, v23, v82 op_sel_hi:[1,0,1]
	v_pk_mul_f16 v22, 0xba62b5c8, v22 op_sel_hi:[1,0]
	v_pk_add_f16 v80, v80, v86
	v_pk_fma_f16 v86, 0x39e9b8d2, v19, v20 op_sel_hi:[1,0,1]
	v_add_f16_e32 v5, v5, v29
	v_pk_mul_f16 v84, 0xb1e1b5c8, v26 op_sel_hi:[1,0]
	v_pk_add_f16 v8, v8, v15
	v_pk_fma_f16 v15, 0x39e9b8d2, v19, v20 op_sel_hi:[1,0,1] neg_lo:[0,0,1] neg_hi:[0,0,1]
	v_pk_add_f16 v18, v78, v18
	v_pk_mul_f16 v20, 0x3b29b1e1, v24 op_sel_hi:[1,0]
	v_pk_add_f16 v24, v80, v86
	v_pk_fma_f16 v78, 0xb8d23b76, v21, v22 op_sel_hi:[1,0,1]
	v_add_f16_e32 v5, v5, v30
	v_pk_mul_f16 v85, 0x3b29ba62, v58 op_sel_hi:[1,0]
	v_pk_add_f16 v8, v8, v15
	v_pk_fma_f16 v15, 0xb8d23b76, v21, v22 op_sel_hi:[1,0,1] neg_lo:[0,0,1] neg_hi:[0,0,1]
	v_pk_fma_f16 v22, 0xbbdd3b76, v25, v84 op_sel_hi:[1,0,1]
	v_pk_mul_f16 v26, 0xbbb23964, v26 op_sel_hi:[1,0]
	v_pk_add_f16 v24, v24, v78
	v_pk_fma_f16 v78, 0x3722bbdd, v23, v20 op_sel_hi:[1,0,1]
	v_add_f16_e32 v5, v5, v31
	v_pk_add_f16 v8, v8, v15
	v_pk_fma_f16 v15, 0x3722bbdd, v23, v20 op_sel_hi:[1,0,1] neg_lo:[0,0,1] neg_hi:[0,0,1]
	v_pk_add_f16 v18, v18, v22
	v_pk_fma_f16 v20, 0x3722b8d2, v27, v85 op_sel_hi:[1,0,1]
	v_pk_add_f16 v22, v24, v78
	v_pk_fma_f16 v24, 0xb46139e9, v25, v26 op_sel_hi:[1,0,1]
	v_add_f16_e32 v5, v5, v32
	v_pk_add_f16 v8, v8, v15
	v_pk_add_f16 v15, v18, v20
	v_pk_mul_f16 v18, 0x3bf7bbb2, v58 op_sel_hi:[1,0]
	v_pk_add_f16 v20, v22, v24
	v_pk_fma_f16 v22, 0xb8d2b461, v7, v75 op_sel_hi:[1,0,1] neg_lo:[0,0,1] neg_hi:[0,0,1]
	v_pk_fma_f16 v24, 0x2de83722, v7, v68 op_sel_hi:[1,0,1] neg_lo:[0,0,1] neg_hi:[0,0,1]
	;; [unrolled: 1-line block ×3, first 2 shown]
	v_add_f16_e32 v5, v5, v44
	v_pk_fma_f16 v58, 0xb461bacd, v16, v76 op_sel_hi:[1,0,1] neg_lo:[0,0,1] neg_hi:[0,0,1]
	v_pk_add_f16 v22, v9, v22 op_sel_hi:[0,1]
	v_pk_add_f16 v24, v9, v24 op_sel_hi:[0,1]
	v_pk_fma_f16 v60, 0xbbddb8d2, v16, v69 op_sel_hi:[1,0,1] neg_lo:[0,0,1] neg_hi:[0,0,1]
	v_pk_add_f16 v7, v9, v7 op_sel_hi:[0,1]
	v_pk_fma_f16 v9, 0x2de839e9, v16, v61 op_sel_hi:[1,0,1] neg_lo:[0,0,1] neg_hi:[0,0,1]
	v_add_f16_e32 v5, v5, v50
	v_pk_add_f16 v16, v22, v58
	v_pk_fma_f16 v22, 0x3b7639e9, v17, v81 op_sel_hi:[1,0,1] neg_lo:[0,0,1] neg_hi:[0,0,1]
	v_pk_add_f16 v24, v24, v60
	v_pk_fma_f16 v58, 0xb461bbdd, v17, v70 op_sel_hi:[1,0,1] neg_lo:[0,0,1] neg_hi:[0,0,1]
	v_pk_add_f16 v7, v7, v9
	v_pk_fma_f16 v9, 0xb8d23722, v17, v62 op_sel_hi:[1,0,1] neg_lo:[0,0,1] neg_hi:[0,0,1]
	v_add_f16_e32 v5, v51, v5
	v_pk_add_f16 v16, v16, v22
	v_pk_fma_f16 v17, 0xbacd3722, v19, v83 op_sel_hi:[1,0,1] neg_lo:[0,0,1] neg_hi:[0,0,1]
	v_pk_add_f16 v22, v24, v58
	v_pk_fma_f16 v24, 0x3b76b461, v19, v71 op_sel_hi:[1,0,1] neg_lo:[0,0,1] neg_hi:[0,0,1]
	v_pk_add_f16 v7, v7, v9
	;; [unrolled: 7-line block ×4, first 2 shown]
	v_pk_fma_f16 v9, 0xb461b8d2, v23, v65 op_sel_hi:[1,0,1] neg_lo:[0,0,1] neg_hi:[0,0,1]
	v_add_f16_e32 v5, v54, v5
	v_pk_fma_f16 v26, 0xb46139e9, v25, v26 op_sel_hi:[1,0,1] neg_lo:[0,0,1] neg_hi:[0,0,1]
	v_pk_add_f16 v16, v16, v17
	v_pk_fma_f16 v17, 0xbbdd3b76, v25, v84 op_sel_hi:[1,0,1] neg_lo:[0,0,1] neg_hi:[0,0,1]
	v_pk_add_f16 v19, v19, v21
	;; [unrolled: 2-line block ×3, first 2 shown]
	v_pk_fma_f16 v9, 0x3722bacd, v25, v66 op_sel_hi:[1,0,1] neg_lo:[0,0,1] neg_hi:[0,0,1]
	v_add_f16_e32 v5, v55, v5
	v_pk_add_f16 v8, v8, v26
	v_pk_fma_f16 v26, 0x2de8b461, v27, v18 op_sel_hi:[1,0,1] neg_lo:[0,0,1] neg_hi:[0,0,1]
	v_pk_add_f16 v16, v16, v17
	v_pk_fma_f16 v17, 0x3722b8d2, v27, v85 op_sel_hi:[1,0,1] neg_lo:[0,0,1] neg_hi:[0,0,1]
	;; [unrolled: 2-line block ×4, first 2 shown]
	v_add_f16_e32 v5, v56, v5
	v_pk_fma_f16 v18, 0x2de8b461, v27, v18 op_sel_hi:[1,0,1]
	v_pk_add_f16 v8, v8, v26
	v_pk_add_f16 v22, v16, v17
	;; [unrolled: 1-line block ×4, first 2 shown]
	v_add_f16_e32 v5, v57, v5
	v_pk_add_f16 v16, v20, v18
	v_alignbit_b32 v17, v8, v8, 16
	v_alignbit_b32 v18, v22, v22, 16
	v_alignbit_b32 v19, v19, v19, 16
	v_alignbit_b32 v20, v7, v7, 16
	ds_store_b16 v59, v5
	ds_store_b128 v59, v[13:16] offset:2
	ds_store_b128 v59, v[17:20] offset:18
.LBB0_12:
	s_wait_alu 0xfffe
	s_or_b32 exec_lo, exec_lo, s1
	v_lshlrev_b32_e32 v7, 1, v0
	global_wb scope:SCOPE_SE
	s_wait_dscnt 0x0
	s_barrier_signal -1
	s_barrier_wait -1
	global_inv scope:SCOPE_SE
	v_add_nc_u32_e32 v5, 0, v7
	v_add3_u32 v8, 0, v11, v7
	s_add_nc_u64 s[2:3], s[14:15], s[2:3]
	s_delay_alu instid0(VALU_DEP_2)
	v_add_nc_u32_e32 v9, v5, v11
	ds_load_u16 v19, v9 offset:1020
	ds_load_u16 v18, v9 offset:1190
	ds_load_u16 v17, v8
	ds_load_u16 v16, v9 offset:170
	ds_load_u16 v14, v9 offset:340
	;; [unrolled: 1-line block ×12, first 2 shown]
	global_wb scope:SCOPE_SE
	s_wait_dscnt 0x0
	s_barrier_signal -1
	s_barrier_wait -1
	global_inv scope:SCOPE_SE
	s_and_saveexec_b32 s1, s0
	s_cbranch_execz .LBB0_14
; %bb.13:
	v_add_f16_e32 v7, v6, v49
	v_sub_f16_e32 v10, v10, v57
	v_add_f16_e32 v49, v49, v33
	v_sub_f16_e32 v12, v12, v56
	v_sub_f16_e32 v55, v28, v55
	v_add_f16_e32 v7, v7, v48
	v_pk_mul_f16 v28, 0xb964b5c8, v10 op_sel_hi:[1,0]
	v_add_f16_e32 v57, v48, v34
	v_sub_f16_e32 v54, v29, v54
	v_sub_f16_e32 v32, v32, v51
	v_add_f16_e32 v7, v7, v47
	v_add_f16_e32 v51, v38, v41
	v_pk_mul_f16 v29, 0xbbf7b964, v12 op_sel_hi:[1,0]
	v_add_f16_e32 v48, v47, v35
	v_add_f16_e32 v47, v45, v37
	;; [unrolled: 1-line block ×4, first 2 shown]
	v_pk_fma_f16 v63, 0x2de839e9, v57, v29 op_sel_hi:[1,0,1] neg_lo:[0,0,1] neg_hi:[0,0,1]
	v_sub_f16_e32 v30, v30, v53
	v_sub_f16_e32 v44, v44, v50
	v_add_f16_e32 v7, v7, v45
	v_pk_mul_f16 v45, 0xba62bb29, v55 op_sel_hi:[1,0]
	v_pk_mul_f16 v50, 0xb1e1bbf7, v54 op_sel_hi:[1,0]
	v_pk_fma_f16 v29, 0x2de839e9, v57, v29 op_sel_hi:[1,0,1]
	v_add_f16_e32 v53, v43, v39
	v_add_f16_e32 v7, v7, v43
	v_pk_fma_f16 v64, 0xb8d23722, v48, v45 op_sel_hi:[1,0,1] neg_lo:[0,0,1] neg_hi:[0,0,1]
	v_sub_f16_e32 v31, v31, v52
	v_add_f16_e32 v46, v42, v40
	v_pk_mul_f16 v43, 0x3836bbb2, v30 op_sel_hi:[1,0]
	v_add_f16_e32 v7, v7, v42
	v_pk_mul_f16 v42, 0xbbf7bb29, v10 op_sel_hi:[1,0]
	v_pk_fma_f16 v65, 0xbbdd2de8, v56, v50 op_sel_hi:[1,0,1] neg_lo:[0,0,1] neg_hi:[0,0,1]
	v_pk_mul_f16 v52, 0x3bb2ba62, v31 op_sel_hi:[1,0]
	v_pk_mul_f16 v60, 0xb1e1ba62, v12 op_sel_hi:[1,0]
	v_add_f16_e32 v7, v7, v38
	v_pk_fma_f16 v38, 0x39e93b76, v49, v28 op_sel_hi:[1,0,1] neg_lo:[0,0,1] neg_hi:[0,0,1]
	v_pk_fma_f16 v28, 0x39e93b76, v49, v28 op_sel_hi:[1,0,1]
	v_pk_mul_f16 v58, 0x3b29b836, v32 op_sel_hi:[1,0]
	v_pk_mul_f16 v61, 0x3bb231e1, v55 op_sel_hi:[1,0]
	v_add_f16_e32 v7, v7, v41
	v_pk_add_f16 v38, v6, v38 op_sel_hi:[0,1]
	v_pk_add_f16 v28, v6, v28 op_sel_hi:[0,1]
	v_pk_fma_f16 v41, 0xbacdb461, v47, v43 op_sel_hi:[1,0,1] neg_lo:[0,0,1] neg_hi:[0,0,1]
	v_pk_fma_f16 v66, 0xb461b8d2, v53, v52 op_sel_hi:[1,0,1] neg_lo:[0,0,1] neg_hi:[0,0,1]
	v_add_f16_e32 v7, v40, v7
	v_pk_add_f16 v38, v38, v63
	v_pk_add_f16 v28, v28, v29
	v_pk_mul_f16 v59, 0x35c8b1e1, v44 op_sel_hi:[1,0]
	v_pk_mul_f16 v62, 0x35c83bb2, v54 op_sel_hi:[1,0]
	v_add_f16_e32 v7, v39, v7
	v_pk_fma_f16 v39, 0xb8d23722, v48, v45 op_sel_hi:[1,0,1]
	v_pk_add_f16 v29, v38, v64
	v_pk_fma_f16 v45, 0xbbdd2de8, v56, v50 op_sel_hi:[1,0,1]
	v_pk_fma_f16 v40, 0x3722bacd, v46, v58 op_sel_hi:[1,0,1] neg_lo:[0,0,1] neg_hi:[0,0,1]
	v_add_f16_e32 v7, v37, v7
	v_pk_add_f16 v28, v28, v39
	v_pk_add_f16 v29, v29, v65
	v_pk_fma_f16 v37, 0xbacdb461, v47, v43 op_sel_hi:[1,0,1]
	v_pk_fma_f16 v39, 0xbbddb8d2, v57, v60 op_sel_hi:[1,0,1] neg_lo:[0,0,1] neg_hi:[0,0,1]
	v_add_f16_e32 v7, v36, v7
	v_pk_fma_f16 v36, 0x2de83722, v49, v42 op_sel_hi:[1,0,1] neg_lo:[0,0,1] neg_hi:[0,0,1]
	v_pk_add_f16 v28, v28, v45
	v_pk_add_f16 v29, v29, v41
	v_pk_fma_f16 v38, 0xb461b8d2, v53, v52 op_sel_hi:[1,0,1]
	v_add_f16_e32 v7, v35, v7
	v_pk_add_f16 v35, v6, v36 op_sel_hi:[0,1]
	v_pk_fma_f16 v36, 0xb461bbdd, v48, v61 op_sel_hi:[1,0,1] neg_lo:[0,0,1] neg_hi:[0,0,1]
	v_pk_add_f16 v28, v28, v37
	v_pk_add_f16 v29, v29, v66
	v_add_f16_e32 v7, v34, v7
	v_pk_add_f16 v34, v35, v39
	v_pk_fma_f16 v35, 0x3722bacd, v46, v58 op_sel_hi:[1,0,1]
	v_pk_add_f16 v28, v28, v38
	v_pk_add_f16 v29, v29, v40
	v_add_f16_e32 v7, v33, v7
	v_pk_add_f16 v33, v34, v36
	v_pk_fma_f16 v34, 0x3b76b461, v56, v62 op_sel_hi:[1,0,1] neg_lo:[0,0,1] neg_hi:[0,0,1]
	v_pk_mul_f16 v36, 0xbb293964, v30 op_sel_hi:[1,0]
	v_pk_fma_f16 v37, 0x3b76bbdd, v51, v59 op_sel_hi:[1,0,1] neg_lo:[0,0,1] neg_hi:[0,0,1]
	v_pk_add_f16 v35, v28, v35
	v_pk_fma_f16 v38, 0x3b76bbdd, v51, v59 op_sel_hi:[1,0,1]
	v_pk_add_f16 v33, v33, v34
	v_pk_fma_f16 v34, 0x372239e9, v47, v36 op_sel_hi:[1,0,1] neg_lo:[0,0,1] neg_hi:[0,0,1]
	v_pk_mul_f16 v39, 0xb836b5c8, v31 op_sel_hi:[1,0]
	v_pk_add_f16 v28, v29, v37
	v_pk_fma_f16 v29, 0x2de83722, v49, v42 op_sel_hi:[1,0,1]
	v_pk_add_f16 v35, v35, v38
	v_pk_add_f16 v33, v33, v34
	v_pk_fma_f16 v34, 0xbacd3b76, v53, v39 op_sel_hi:[1,0,1] neg_lo:[0,0,1] neg_hi:[0,0,1]
	v_pk_mul_f16 v37, 0x3a62bbf7, v32 op_sel_hi:[1,0]
	v_pk_mul_f16 v38, 0xba62bbb2, v10 op_sel_hi:[1,0]
	v_pk_add_f16 v29, v6, v29 op_sel_hi:[0,1]
	v_pk_fma_f16 v40, 0xbbddb8d2, v57, v60 op_sel_hi:[1,0,1]
	v_pk_add_f16 v33, v33, v34
	v_pk_fma_f16 v34, 0xb8d22de8, v46, v37 op_sel_hi:[1,0,1] neg_lo:[0,0,1] neg_hi:[0,0,1]
	v_pk_fma_f16 v41, 0xb8d2b461, v49, v38 op_sel_hi:[1,0,1] neg_lo:[0,0,1] neg_hi:[0,0,1]
	v_pk_mul_f16 v42, 0x3bb23836, v12 op_sel_hi:[1,0]
	v_pk_add_f16 v29, v29, v40
	v_pk_fma_f16 v40, 0xb461bbdd, v48, v61 op_sel_hi:[1,0,1]
	v_pk_add_f16 v33, v33, v34
	v_pk_add_f16 v34, v6, v41 op_sel_hi:[0,1]
	v_pk_fma_f16 v41, 0xb461bacd, v57, v42 op_sel_hi:[1,0,1] neg_lo:[0,0,1] neg_hi:[0,0,1]
	v_pk_mul_f16 v43, 0xb5c83964, v55 op_sel_hi:[1,0]
	v_pk_add_f16 v29, v29, v40
	v_pk_fma_f16 v40, 0x3b76b461, v56, v62 op_sel_hi:[1,0,1]
	v_pk_mul_f16 v45, 0x3964b836, v44 op_sel_hi:[1,0]
	v_pk_add_f16 v34, v34, v41
	v_pk_fma_f16 v41, 0x3b7639e9, v48, v43 op_sel_hi:[1,0,1] neg_lo:[0,0,1] neg_hi:[0,0,1]
	v_pk_mul_f16 v50, 0xb836bb29, v54 op_sel_hi:[1,0]
	v_pk_add_f16 v29, v29, v40
	v_pk_fma_f16 v36, 0x372239e9, v47, v36 op_sel_hi:[1,0,1]
	v_pk_fma_f16 v40, 0x39e9bacd, v51, v45 op_sel_hi:[1,0,1] neg_lo:[0,0,1] neg_hi:[0,0,1]
	v_pk_add_f16 v34, v34, v41
	v_pk_fma_f16 v41, 0xbacd3722, v56, v50 op_sel_hi:[1,0,1] neg_lo:[0,0,1] neg_hi:[0,0,1]
	v_pk_fma_f16 v39, 0xbacd3b76, v53, v39 op_sel_hi:[1,0,1]
	v_pk_add_f16 v36, v29, v36
	v_pk_fma_f16 v38, 0xb8d2b461, v49, v38 op_sel_hi:[1,0,1]
	v_pk_add_f16 v29, v33, v40
	v_pk_add_f16 v33, v34, v41
	v_pk_fma_f16 v37, 0xb8d22de8, v46, v37 op_sel_hi:[1,0,1]
	v_pk_add_f16 v36, v36, v39
	v_pk_add_f16 v38, v6, v38 op_sel_hi:[0,1]
	v_pk_fma_f16 v41, 0xb461bacd, v57, v42 op_sel_hi:[1,0,1]
	v_pk_mul_f16 v10, 0xb1e1b836, v10 op_sel_hi:[1,0]
	v_pk_mul_f16 v12, 0x35c83b29, v12 op_sel_hi:[1,0]
	v_pk_add_f16 v36, v36, v37
	v_pk_fma_f16 v37, 0x39e9bacd, v51, v45 op_sel_hi:[1,0,1]
	v_pk_add_f16 v38, v38, v41
	v_pk_fma_f16 v41, 0x3b7639e9, v48, v43 op_sel_hi:[1,0,1]
	v_pk_mul_f16 v52, 0x3bf7b1e1, v30 op_sel_hi:[1,0]
	v_pk_mul_f16 v43, 0xb836bbf7, v55 op_sel_hi:[1,0]
	v_pk_add_f16 v36, v36, v37
	v_pk_mul_f16 v45, 0x39643a62, v54 op_sel_hi:[1,0]
	v_pk_add_f16 v37, v38, v41
	v_pk_fma_f16 v38, 0xbacd3722, v56, v50 op_sel_hi:[1,0,1]
	v_pk_fma_f16 v41, 0xbbddbacd, v49, v10 op_sel_hi:[1,0,1]
	v_pk_fma_f16 v10, 0xbbddbacd, v49, v10 op_sel_hi:[1,0,1] neg_lo:[0,0,1] neg_hi:[0,0,1]
	v_pk_fma_f16 v34, 0x2de8bbdd, v47, v52 op_sel_hi:[1,0,1] neg_lo:[0,0,1] neg_hi:[0,0,1]
	v_pk_mul_f16 v40, 0xb9643bf7, v31 op_sel_hi:[1,0]
	v_pk_add_f16 v37, v37, v38
	v_pk_add_f16 v38, v6, v41 op_sel_hi:[0,1]
	v_pk_fma_f16 v41, 0x3b763722, v57, v12 op_sel_hi:[1,0,1]
	v_pk_add_f16 v6, v6, v10 op_sel_hi:[0,1]
	v_pk_fma_f16 v10, 0x3b763722, v57, v12 op_sel_hi:[1,0,1] neg_lo:[0,0,1] neg_hi:[0,0,1]
	v_pk_fma_f16 v12, 0x2de8bbdd, v47, v52 op_sel_hi:[1,0,1]
	v_pk_mul_f16 v30, 0xba62b5c8, v30 op_sel_hi:[1,0]
	v_pk_add_f16 v38, v38, v41
	v_pk_fma_f16 v41, 0xbacd2de8, v48, v43 op_sel_hi:[1,0,1]
	v_pk_add_f16 v6, v6, v10
	v_pk_fma_f16 v10, 0xbacd2de8, v48, v43 op_sel_hi:[1,0,1] neg_lo:[0,0,1] neg_hi:[0,0,1]
	v_pk_add_f16 v12, v37, v12
	v_pk_add_f16 v33, v33, v34
	;; [unrolled: 1-line block ×3, first 2 shown]
	v_pk_fma_f16 v38, 0x39e9b8d2, v56, v45 op_sel_hi:[1,0,1]
	v_pk_add_f16 v6, v6, v10
	v_pk_fma_f16 v10, 0x39e9b8d2, v56, v45 op_sel_hi:[1,0,1] neg_lo:[0,0,1] neg_hi:[0,0,1]
	v_pk_fma_f16 v34, 0x39e92de8, v53, v40 op_sel_hi:[1,0,1] neg_lo:[0,0,1] neg_hi:[0,0,1]
	v_pk_mul_f16 v39, 0xb1e1b5c8, v32 op_sel_hi:[1,0]
	v_pk_add_f16 v37, v37, v38
	v_pk_fma_f16 v38, 0xb8d23b76, v47, v30 op_sel_hi:[1,0,1]
	v_pk_mul_f16 v31, 0x3b29b1e1, v31 op_sel_hi:[1,0]
	v_pk_add_f16 v6, v6, v10
	v_pk_fma_f16 v10, 0xb8d23b76, v47, v30 op_sel_hi:[1,0,1] neg_lo:[0,0,1] neg_hi:[0,0,1]
	v_pk_add_f16 v33, v33, v34
	v_pk_fma_f16 v34, 0xbbdd3b76, v46, v39 op_sel_hi:[1,0,1] neg_lo:[0,0,1] neg_hi:[0,0,1]
	v_pk_fma_f16 v40, 0x39e92de8, v53, v40 op_sel_hi:[1,0,1]
	v_pk_add_f16 v30, v37, v38
	v_pk_fma_f16 v37, 0x3722bbdd, v53, v31 op_sel_hi:[1,0,1]
	v_pk_mul_f16 v32, 0xbbb23964, v32 op_sel_hi:[1,0]
	v_pk_add_f16 v6, v6, v10
	v_pk_fma_f16 v10, 0x3722bbdd, v53, v31 op_sel_hi:[1,0,1] neg_lo:[0,0,1] neg_hi:[0,0,1]
	v_pk_add_f16 v33, v33, v34
	v_pk_mul_f16 v34, 0x3b29ba62, v44 op_sel_hi:[1,0]
	v_pk_add_f16 v12, v12, v40
	v_pk_fma_f16 v31, 0xbbdd3b76, v46, v39 op_sel_hi:[1,0,1]
	v_pk_add_f16 v30, v30, v37
	v_pk_fma_f16 v37, 0xb46139e9, v46, v32 op_sel_hi:[1,0,1]
	v_pk_mul_f16 v38, 0x3bf7bbb2, v44 op_sel_hi:[1,0]
	v_pk_add_f16 v6, v6, v10
	v_pk_fma_f16 v10, 0xb46139e9, v46, v32 op_sel_hi:[1,0,1] neg_lo:[0,0,1] neg_hi:[0,0,1]
	v_pk_add_f16 v12, v12, v31
	v_pk_add_f16 v30, v30, v37
	v_pk_fma_f16 v31, 0x2de8b461, v51, v38 op_sel_hi:[1,0,1]
	v_pk_fma_f16 v32, 0x3722b8d2, v51, v34 op_sel_hi:[1,0,1]
	v_pk_fma_f16 v42, 0x3722b8d2, v51, v34 op_sel_hi:[1,0,1] neg_lo:[0,0,1] neg_hi:[0,0,1]
	v_lshlrev_b32_e32 v34, 5, v0
	v_pk_add_f16 v6, v6, v10
	v_pk_fma_f16 v10, 0x2de8b461, v51, v38 op_sel_hi:[1,0,1] neg_lo:[0,0,1] neg_hi:[0,0,1]
	v_pk_add_f16 v37, v30, v31
	v_pk_add_f16 v12, v12, v32
	v_add3_u32 v5, v5, v34, v11
	v_pk_add_f16 v30, v33, v42
	v_pk_add_f16 v31, v6, v10
	v_alignbit_b32 v32, v37, v37, 16
	v_alignbit_b32 v33, v12, v12, 16
	v_alignbit_b32 v34, v36, v36, 16
	v_alignbit_b32 v35, v35, v35, 16
	ds_store_b16 v5, v7
	ds_store_b128 v5, v[28:31] offset:2
	ds_store_b128 v5, v[32:35] offset:18
.LBB0_14:
	s_wait_alu 0xfffe
	s_or_b32 exec_lo, exec_lo, s1
	v_add_nc_u32_e32 v10, 0x55, v0
	v_and_b32_e32 v5, 0xff, v0
	v_add_nc_u32_e32 v7, 0xaa, v0
	v_add_nc_u32_e32 v12, 0xff, v0
	;; [unrolled: 1-line block ×3, first 2 shown]
	v_and_b32_e32 v39, 0xff, v10
	v_mul_lo_u16 v5, 0xf1, v5
	v_and_b32_e32 v41, 0xff, v7
	v_and_b32_e32 v28, 0xffff, v12
	;; [unrolled: 1-line block ×3, first 2 shown]
	s_load_b64 s[2:3], s[2:3], 0x0
	v_lshrrev_b16 v40, 12, v5
	v_mul_lo_u16 v5, 0xf1, v39
	v_mul_lo_u16 v31, 0xf1, v41
	global_wb scope:SCOPE_SE
	s_wait_dscnt 0x0
	s_wait_kmcnt 0x0
	s_barrier_signal -1
	v_mul_lo_u16 v30, v40, 17
	v_lshrrev_b16 v42, 12, v5
	v_mul_u32_u24_e32 v5, 0xf0f1, v28
	v_mul_u32_u24_e32 v28, 0xf0f1, v29
	v_lshrrev_b16 v43, 12, v31
	v_sub_nc_u16 v29, v0, v30
	v_mul_lo_u16 v30, v42, 17
	v_lshrrev_b32_e32 v44, 20, v5
	v_lshrrev_b32_e32 v45, 20, v28
	v_mul_lo_u16 v5, v43, 17
	v_and_b32_e32 v46, 0xff, v29
	v_sub_nc_u16 v28, v10, v30
	v_mul_lo_u16 v29, v44, 17
	v_mul_lo_u16 v30, v45, 17
	v_sub_nc_u16 v5, v7, v5
	v_lshlrev_b32_e32 v31, 3, v46
	v_and_b32_e32 v47, 0xff, v28
	v_sub_nc_u16 v28, v12, v29
	v_sub_nc_u16 v6, v6, v30
	v_and_b32_e32 v48, 0xff, v5
	s_barrier_wait -1
	v_lshlrev_b32_e32 v5, 3, v47
	v_and_b32_e32 v49, 0xffff, v28
	v_and_b32_e32 v50, 0xffff, v6
	global_inv scope:SCOPE_SE
	global_load_b64 v[29:30], v31, s[8:9]
	v_lshlrev_b32_e32 v6, 3, v48
	v_lshlrev_b32_e32 v28, 3, v49
	global_load_b64 v[31:32], v5, s[8:9]
	v_lshlrev_b32_e32 v5, 3, v50
	s_clause 0x2
	global_load_b64 v[33:34], v6, s[8:9]
	global_load_b64 v[35:36], v28, s[8:9]
	global_load_b64 v[37:38], v5, s[8:9]
	v_mov_b32_e32 v6, 0
	v_subrev_nc_u32_e32 v5, 51, v0
	v_cmp_gt_u32_e64 s0, 51, v0
	ds_load_u16 v51, v9 offset:1020
	ds_load_u16 v52, v9 offset:1190
	ds_load_u16 v53, v8
	ds_load_u16 v54, v9 offset:170
	ds_load_u16 v55, v9 offset:340
	;; [unrolled: 1-line block ×12, first 2 shown]
	s_wait_alu 0xf1ff
	v_cndmask_b32_e64 v28, v5, v0, s0
	v_and_b32_e32 v65, 0xffff, v40
	v_and_b32_e32 v42, 0xffff, v42
	v_mul_lo_u16 v64, 0xa1, v39
	v_and_b32_e32 v43, 0xffff, v43
	v_lshlrev_b32_e32 v5, 2, v28
	v_lshlrev_b32_e32 v46, 1, v46
	v_mad_u32_u24 v42, 0x66, v42, 0
	v_lshlrev_b32_e32 v47, 1, v47
	v_mad_u32_u24 v44, 0x66, v44, 0
	v_lshlrev_b64_e32 v[39:40], 2, v[5:6]
	v_mad_u32_u24 v5, 0x66, v65, 0
	v_mad_u32_u24 v45, 0x66, v45, 0
	;; [unrolled: 1-line block ×3, first 2 shown]
	v_lshlrev_b32_e32 v48, 1, v48
	v_lshlrev_b32_e32 v49, 1, v49
	;; [unrolled: 1-line block ×3, first 2 shown]
	v_add3_u32 v46, v5, v46, v11
	v_add3_u32 v42, v42, v47, v11
	;; [unrolled: 1-line block ×5, first 2 shown]
	v_mul_lo_u16 v41, 0xa1, v41
	v_lshrrev_b16 v64, 13, v64
	v_add_co_u32 v39, s0, s8, v39
	s_wait_alu 0xf1ff
	v_add_co_ci_u32_e64 v40, s0, s9, v40, s0
	v_lshrrev_b16 v41, 13, v41
	v_mul_lo_u16 v65, v64, 51
	global_wb scope:SCOPE_SE
	s_wait_loadcnt_dscnt 0x0
	s_barrier_signal -1
	s_barrier_wait -1
	v_mul_lo_u16 v68, v41, 51
	v_sub_nc_u16 v65, v10, v65
	global_inv scope:SCOPE_SE
	v_cmp_lt_u32_e64 s0, 50, v0
	v_lshlrev_b32_e32 v28, 1, v28
	v_sub_nc_u16 v68, v7, v68
	v_and_b32_e32 v65, 0xff, v65
	s_delay_alu instid0(VALU_DEP_2) | instskip(NEXT) | instid1(VALU_DEP_2)
	v_and_b32_e32 v68, 0xff, v68
	v_lshlrev_b32_e32 v69, 4, v65
	v_lshrrev_b32_e32 v5, 16, v29
	v_lshrrev_b32_e32 v47, 16, v30
	;; [unrolled: 1-line block ×4, first 2 shown]
	s_delay_alu instid0(VALU_DEP_4)
	v_mul_f16_e32 v48, v58, v5
	v_mul_f16_e32 v5, v26, v5
	v_mul_f16_e32 v49, v66, v47
	v_mul_f16_e32 v47, v27, v47
	v_lshrrev_b32_e32 v71, 16, v33
	v_lshrrev_b32_e32 v72, 16, v34
	;; [unrolled: 1-line block ×6, first 2 shown]
	v_fmac_f16_e32 v48, v26, v29
	v_fma_f16 v5, v58, v29, -v5
	v_fmac_f16_e32 v49, v27, v30
	v_fma_f16 v26, v66, v30, -v47
	v_mul_f16_e32 v27, v51, v50
	v_mul_f16_e32 v29, v19, v50
	;; [unrolled: 1-line block ×16, first 2 shown]
	v_fmac_f16_e32 v27, v19, v31
	v_fma_f16 v19, v51, v31, -v29
	v_fmac_f16_e32 v30, v25, v32
	v_add_f16_e32 v31, v48, v49
	v_fma_f16 v25, v60, v32, -v47
	v_fmac_f16_e32 v50, v18, v33
	v_fma_f16 v18, v52, v33, -v58
	v_fmac_f16_e32 v66, v24, v34
	v_fmac_f16_e32 v71, v20, v35
	;; [unrolled: 1-line block ×5, first 2 shown]
	v_add_f16_e32 v33, v53, v5
	v_fma_f16 v24, v61, v34, -v70
	v_fma_f16 v20, v57, v35, -v72
	v_fma_f16 v22, v62, v36, -v74
	v_fma_f16 v23, v67, v37, -v75
	v_fma_f16 v21, v63, v38, -v76
	v_sub_f16_e32 v32, v5, v26
	v_add_f16_e32 v5, v5, v26
	v_add_f16_e32 v29, v17, v48
	v_fmac_f16_e32 v17, -0.5, v31
	v_add_f16_e32 v31, v27, v30
	v_sub_f16_e32 v34, v48, v49
	v_add_f16_e32 v26, v33, v26
	v_sub_f16_e32 v33, v19, v25
	v_add_f16_e32 v35, v54, v19
	v_add_f16_e32 v19, v19, v25
	v_add_f16_e32 v36, v14, v50
	v_add_f16_e32 v37, v50, v66
	v_sub_f16_e32 v48, v50, v66
	v_add_f16_e32 v50, v71, v73
	v_add_f16_e32 v60, v77, v78
	v_sub_f16_e32 v38, v18, v24
	v_add_f16_e32 v47, v55, v18
	v_add_f16_e32 v18, v18, v24
	v_sub_f16_e32 v51, v20, v22
	v_add_f16_e32 v52, v56, v20
	v_add_f16_e32 v20, v20, v22
	v_sub_f16_e32 v61, v23, v21
	v_add_f16_e32 v62, v59, v23
	v_add_f16_e32 v23, v23, v21
	v_fmac_f16_e32 v53, -0.5, v5
	v_add_f16_e32 v5, v16, v27
	v_fmac_f16_e32 v16, -0.5, v31
	v_add_f16_e32 v29, v29, v49
	v_sub_f16_e32 v27, v27, v30
	v_add_f16_e32 v49, v13, v71
	v_add_f16_e32 v58, v15, v77
	v_fmac_f16_e32 v54, -0.5, v19
	v_fmac_f16_e32 v14, -0.5, v37
	;; [unrolled: 1-line block ×4, first 2 shown]
	v_sub_f16_e32 v57, v71, v73
	v_sub_f16_e32 v63, v77, v78
	v_fmamk_f16 v67, v32, 0xbaee, v17
	v_fmac_f16_e32 v55, -0.5, v18
	v_fmac_f16_e32 v56, -0.5, v20
	;; [unrolled: 1-line block ×3, first 2 shown]
	v_fmac_f16_e32 v17, 0x3aee, v32
	v_fmamk_f16 v32, v34, 0x3aee, v53
	v_fmac_f16_e32 v53, 0xbaee, v34
	v_add_f16_e32 v5, v5, v30
	v_add_f16_e32 v25, v35, v25
	v_fmamk_f16 v23, v33, 0xbaee, v16
	v_add_f16_e32 v19, v36, v66
	v_add_f16_e32 v18, v49, v73
	;; [unrolled: 1-line block ×3, first 2 shown]
	v_fmac_f16_e32 v16, 0x3aee, v33
	v_fmamk_f16 v30, v27, 0x3aee, v54
	v_fmac_f16_e32 v54, 0xbaee, v27
	v_fmamk_f16 v27, v38, 0xbaee, v14
	;; [unrolled: 2-line block ×4, first 2 shown]
	v_fmac_f16_e32 v15, 0x3aee, v61
	ds_store_b16 v46, v29
	ds_store_b16 v46, v67 offset:34
	ds_store_b16 v46, v17 offset:68
	ds_store_b16 v42, v5
	ds_store_b16 v42, v23 offset:34
	ds_store_b16 v42, v16 offset:68
	ds_store_b16 v43, v19
	ds_store_b16 v43, v27 offset:34
	ds_store_b16 v43, v14 offset:68
	ds_store_b16 v44, v18
	ds_store_b16 v44, v33 offset:34
	ds_store_b16 v44, v13 offset:68
	ds_store_b16 v45, v20
	ds_store_b16 v45, v35 offset:34
	ds_store_b16 v45, v15 offset:68
	v_lshlrev_b32_e32 v23, 4, v68
	v_add_f16_e32 v24, v47, v24
	v_add_f16_e32 v22, v52, v22
	;; [unrolled: 1-line block ×3, first 2 shown]
	v_fmamk_f16 v31, v48, 0x3aee, v55
	v_fmac_f16_e32 v55, 0xbaee, v48
	v_fmamk_f16 v34, v57, 0x3aee, v56
	v_fmac_f16_e32 v56, 0xbaee, v57
	;; [unrolled: 2-line block ×3, first 2 shown]
	global_wb scope:SCOPE_SE
	s_wait_dscnt 0x0
	s_barrier_signal -1
	s_barrier_wait -1
	global_inv scope:SCOPE_SE
	ds_load_u16 v14, v8
	ds_load_u16 v5, v9 offset:170
	ds_load_u16 v27, v9 offset:680
	;; [unrolled: 1-line block ×14, first 2 shown]
	global_wb scope:SCOPE_SE
	s_wait_dscnt 0x0
	s_barrier_signal -1
	s_barrier_wait -1
	global_inv scope:SCOPE_SE
	ds_store_b16 v46, v26
	ds_store_b16 v46, v32 offset:34
	ds_store_b16 v46, v53 offset:68
	ds_store_b16 v42, v25
	ds_store_b16 v42, v30 offset:34
	ds_store_b16 v42, v54 offset:68
	;; [unrolled: 3-line block ×5, first 2 shown]
	global_wb scope:SCOPE_SE
	s_wait_dscnt 0x0
	s_barrier_signal -1
	s_barrier_wait -1
	global_inv scope:SCOPE_SE
	s_clause 0x2
	global_load_b128 v[15:18], v[39:40], off offset:136
	global_load_b128 v[19:22], v69, s[8:9] offset:136
	global_load_b128 v[23:26], v23, s[8:9] offset:136
	s_wait_alu 0xf1ff
	v_cndmask_b32_e64 v30, 0, 0x1fe, s0
	v_and_b32_e32 v31, 0xffff, v64
	v_and_b32_e32 v32, 0xffff, v41
	v_lshlrev_b32_e32 v34, 1, v65
	v_lshlrev_b32_e32 v36, 1, v68
	v_add_nc_u32_e32 v30, 0, v30
	v_mad_u32_u24 v31, 0x1fe, v31, 0
	v_mad_u32_u24 v32, 0x1fe, v32, 0
	s_delay_alu instid0(VALU_DEP_3) | instskip(NEXT) | instid1(VALU_DEP_3)
	v_add3_u32 v28, v30, v28, v11
	v_add3_u32 v30, v31, v34, v11
	s_delay_alu instid0(VALU_DEP_3)
	v_add3_u32 v31, v32, v36, v11
	ds_load_u16 v32, v8
	ds_load_u16 v34, v9 offset:170
	ds_load_u16 v11, v9 offset:680
	;; [unrolled: 1-line block ×14, first 2 shown]
	global_wb scope:SCOPE_SE
	s_wait_loadcnt_dscnt 0x0
	s_barrier_signal -1
	s_barrier_wait -1
	global_inv scope:SCOPE_SE
	v_lshrrev_b32_e32 v57, 16, v16
	v_lshrrev_b32_e32 v58, 16, v17
	;; [unrolled: 1-line block ×12, first 2 shown]
	v_mul_f16_e32 v69, v40, v57
	v_mul_f16_e32 v70, v54, v58
	;; [unrolled: 1-line block ×24, first 2 shown]
	v_fmac_f16_e32 v69, v35, v16
	v_fmac_f16_e32 v70, v51, v17
	v_fmac_f16_e32 v68, v38, v15
	v_fmac_f16_e32 v71, v49, v18
	v_fmac_f16_e32 v72, v27, v19
	v_fmac_f16_e32 v76, v37, v23
	v_fmac_f16_e32 v77, v52, v24
	v_fmac_f16_e32 v78, v50, v25
	v_fmac_f16_e32 v79, v48, v26
	v_fma_f16 v15, v42, v15, -v56
	v_fma_f16 v16, v40, v16, -v57
	;; [unrolled: 1-line block ×5, first 2 shown]
	v_fmac_f16_e32 v73, v29, v20
	v_fma_f16 v19, v36, v20, -v61
	v_fmac_f16_e32 v74, v33, v21
	v_fma_f16 v20, v39, v21, -v62
	;; [unrolled: 2-line block ×3, first 2 shown]
	v_fma_f16 v22, v41, v23, -v64
	v_fma_f16 v23, v55, v24, -v65
	;; [unrolled: 1-line block ×4, first 2 shown]
	v_add_f16_e32 v27, v69, v70
	v_add_f16_e32 v37, v68, v71
	v_sub_f16_e32 v35, v68, v69
	v_sub_f16_e32 v36, v71, v70
	;; [unrolled: 1-line block ×4, first 2 shown]
	v_add_f16_e32 v49, v5, v72
	v_add_f16_e32 v67, v77, v78
	;; [unrolled: 1-line block ×4, first 2 shown]
	v_sub_f16_e32 v29, v15, v18
	v_add_f16_e32 v40, v32, v15
	v_add_f16_e32 v41, v16, v17
	v_sub_f16_e32 v45, v15, v16
	v_sub_f16_e32 v46, v18, v17
	v_add_f16_e32 v47, v15, v18
	v_sub_f16_e32 v15, v16, v15
	v_sub_f16_e32 v48, v17, v18
	;; [unrolled: 3-line block ×3, first 2 shown]
	v_add_f16_e32 v55, v72, v75
	v_add_f16_e32 v58, v34, v11
	;; [unrolled: 1-line block ×7, first 2 shown]
	v_sub_f16_e32 v56, v73, v72
	v_sub_f16_e32 v57, v74, v75
	v_fma_f16 v27, -0.5, v27, v14
	v_sub_f16_e32 v33, v16, v17
	v_fmac_f16_e32 v14, -0.5, v37
	v_sub_f16_e32 v51, v11, v21
	v_sub_f16_e32 v60, v72, v75
	;; [unrolled: 1-line block ×6, first 2 shown]
	v_add_f16_e32 v35, v35, v36
	v_add_f16_e32 v36, v38, v39
	;; [unrolled: 1-line block ×3, first 2 shown]
	v_fma_f16 v49, -0.5, v67, v13
	v_fmac_f16_e32 v13, -0.5, v82
	v_sub_f16_e32 v42, v68, v71
	v_sub_f16_e32 v44, v69, v70
	;; [unrolled: 1-line block ×6, first 2 shown]
	v_add_f16_e32 v85, v43, v22
	v_sub_f16_e32 v87, v77, v78
	v_add_f16_e32 v26, v26, v69
	v_add_f16_e32 v16, v40, v16
	v_fma_f16 v37, -0.5, v41, v32
	v_add_f16_e32 v38, v45, v46
	v_fmac_f16_e32 v32, -0.5, v47
	v_add_f16_e32 v15, v15, v48
	v_fma_f16 v40, -0.5, v50, v5
	v_add_f16_e32 v41, v53, v54
	v_fmac_f16_e32 v5, -0.5, v55
	v_add_f16_e32 v19, v58, v19
	v_fma_f16 v46, -0.5, v59, v34
	v_fmac_f16_e32 v34, -0.5, v64
	v_add_f16_e32 v48, v66, v77
	v_fma_f16 v54, -0.5, v86, v43
	v_fmac_f16_e32 v43, -0.5, v90
	v_add_f16_e32 v45, v56, v57
	v_fmamk_f16 v56, v29, 0xbb9c, v27
	v_fmamk_f16 v57, v33, 0x3b9c, v14
	v_fmac_f16_e32 v14, 0xbb9c, v33
	v_sub_f16_e32 v83, v77, v76
	v_sub_f16_e32 v84, v78, v79
	v_add_f16_e32 v11, v11, v65
	v_fmac_f16_e32 v27, 0x3b9c, v29
	v_fmamk_f16 v65, v72, 0x3b9c, v13
	v_fmac_f16_e32 v13, 0xbb9c, v72
	v_sub_f16_e32 v80, v76, v77
	v_sub_f16_e32 v81, v79, v78
	;; [unrolled: 1-line block ×6, first 2 shown]
	v_add_f16_e32 v47, v62, v63
	v_add_f16_e32 v23, v85, v23
	;; [unrolled: 1-line block ×4, first 2 shown]
	v_fmamk_f16 v59, v44, 0xbb9c, v32
	v_fmac_f16_e32 v32, 0x3b9c, v44
	v_add_f16_e32 v17, v39, v74
	v_fmamk_f16 v39, v51, 0xbb9c, v40
	v_fmac_f16_e32 v40, 0x3b9c, v51
	v_fmamk_f16 v62, v52, 0x3b9c, v5
	v_fmac_f16_e32 v5, 0xbb9c, v52
	v_add_f16_e32 v19, v19, v20
	v_fmamk_f16 v64, v61, 0xbb9c, v34
	v_fmac_f16_e32 v34, 0x3b9c, v61
	v_add_f16_e32 v20, v48, v78
	v_fmamk_f16 v48, v68, 0xbb9c, v49
	v_fmac_f16_e32 v49, 0x3b9c, v68
	v_fmamk_f16 v67, v87, 0xbb9c, v43
	v_fmac_f16_e32 v43, 0x3b9c, v87
	v_fmac_f16_e32 v56, 0xb8b4, v33
	;; [unrolled: 1-line block ×4, first 2 shown]
	v_add_f16_e32 v53, v83, v84
	v_fmac_f16_e32 v27, 0x38b4, v33
	v_fmac_f16_e32 v13, 0x38b4, v68
	v_sub_f16_e32 v89, v25, v24
	v_add_f16_e32 v50, v80, v81
	v_add_f16_e32 v22, v22, v91
	;; [unrolled: 1-line block ×4, first 2 shown]
	v_fmac_f16_e32 v59, 0x38b4, v42
	v_fmac_f16_e32 v32, 0xb8b4, v42
	;; [unrolled: 1-line block ×16, first 2 shown]
	v_add_f16_e32 v29, v16, v18
	v_add_f16_e32 v16, v17, v75
	;; [unrolled: 1-line block ×3, first 2 shown]
	v_fmac_f16_e32 v27, 0x34f2, v35
	v_fmac_f16_e32 v13, 0x34f2, v53
	v_fmamk_f16 v58, v42, 0x3b9c, v37
	v_fmac_f16_e32 v37, 0xbb9c, v42
	v_add_f16_e32 v33, v19, v21
	v_add_f16_e32 v42, v23, v25
	v_fmac_f16_e32 v59, 0x34f2, v15
	v_fmac_f16_e32 v32, 0x34f2, v15
	;; [unrolled: 1-line block ×13, first 2 shown]
	ds_store_b16 v28, v24
	ds_store_b16 v28, v56 offset:102
	ds_store_b16 v28, v57 offset:204
	ds_store_b16 v28, v14 offset:306
	ds_store_b16 v28, v27 offset:408
	ds_store_b16 v30, v16
	ds_store_b16 v30, v39 offset:102
	ds_store_b16 v30, v62 offset:204
	ds_store_b16 v30, v5 offset:306
	ds_store_b16 v30, v40 offset:408
	;; [unrolled: 5-line block ×3, first 2 shown]
	global_wb scope:SCOPE_SE
	s_wait_dscnt 0x0
	s_barrier_signal -1
	s_barrier_wait -1
	global_inv scope:SCOPE_SE
	ds_load_u16 v11, v8
	ds_load_u16 v13, v9 offset:170
	ds_load_u16 v19, v9 offset:680
	;; [unrolled: 1-line block ×14, first 2 shown]
	v_fmamk_f16 v63, v60, 0x3b9c, v46
	v_fmac_f16_e32 v46, 0xbb9c, v60
	v_fmamk_f16 v66, v76, 0x3b9c, v54
	v_fmac_f16_e32 v54, 0xbb9c, v76
	v_fmac_f16_e32 v58, 0x38b4, v44
	;; [unrolled: 1-line block ×3, first 2 shown]
	v_add_f16_e32 v55, v88, v89
	v_fmac_f16_e32 v63, 0x38b4, v61
	v_fmac_f16_e32 v46, 0xb8b4, v61
	;; [unrolled: 1-line block ×10, first 2 shown]
	global_wb scope:SCOPE_SE
	s_wait_dscnt 0x0
	s_barrier_signal -1
	s_barrier_wait -1
	global_inv scope:SCOPE_SE
	ds_store_b16 v28, v29
	ds_store_b16 v28, v58 offset:102
	ds_store_b16 v28, v59 offset:204
	ds_store_b16 v28, v32 offset:306
	ds_store_b16 v28, v37 offset:408
	ds_store_b16 v30, v33
	ds_store_b16 v30, v63 offset:102
	ds_store_b16 v30, v64 offset:204
	ds_store_b16 v30, v34 offset:306
	ds_store_b16 v30, v46 offset:408
	;; [unrolled: 5-line block ×3, first 2 shown]
	global_wb scope:SCOPE_SE
	s_wait_dscnt 0x0
	s_barrier_signal -1
	s_barrier_wait -1
	global_inv scope:SCOPE_SE
	s_and_saveexec_b32 s0, vcc_lo
	s_cbranch_execz .LBB0_16
; %bb.15:
	v_add_nc_u32_e32 v50, 0x3fc, v0
	v_add_nc_u32_e32 v49, 0x2fd, v0
	v_mul_lo_u32 v45, s3, v3
	v_mul_lo_u32 v46, s2, v4
	v_mad_co_u64_u32 v[3:4], null, s2, v3, 0
	v_mad_co_u64_u32 v[43:44], null, s16, v50, 0
	v_add_nc_u32_e32 v48, 0x1fe, v0
	v_mad_co_u64_u32 v[41:42], null, s16, v49, 0
	v_mul_hi_u32 v47, 0x80808081, v10
	v_add3_u32 v4, v4, v46, v45
	s_delay_alu instid0(VALU_DEP_4) | instskip(SKIP_2) | instid1(VALU_DEP_4)
	v_mad_co_u64_u32 v[39:40], null, s16, v48, 0
	v_lshlrev_b32_e32 v5, 2, v7
	v_lshlrev_b64_e32 v[1:2], 2, v[1:2]
	v_lshlrev_b64_e32 v[3:4], 2, v[3:4]
	v_lshrrev_b32_e32 v51, 7, v47
	s_delay_alu instid0(VALU_DEP_4) | instskip(SKIP_1) | instid1(VALU_DEP_1)
	v_lshlrev_b64_e32 v[27:28], 2, v[5:6]
	v_lshlrev_b32_e32 v5, 2, v10
	v_lshlrev_b64_e32 v[31:32], 2, v[5:6]
	v_lshlrev_b32_e32 v5, 2, v0
	s_delay_alu instid0(VALU_DEP_4) | instskip(SKIP_2) | instid1(VALU_DEP_3)
	v_add_co_u32 v27, vcc_lo, s8, v27
	s_wait_alu 0xfffd
	v_add_co_ci_u32_e32 v28, vcc_lo, s9, v28, vcc_lo
	v_lshlrev_b64_e32 v[5:6], 2, v[5:6]
	v_add_co_u32 v31, vcc_lo, s8, v31
	global_load_b128 v[27:30], v[27:28], off offset:952
	s_wait_alu 0xfffd
	v_add_co_ci_u32_e32 v32, vcc_lo, s9, v32, vcc_lo
	v_add_co_u32 v5, vcc_lo, s8, v5
	s_wait_alu 0xfffd
	v_add_co_ci_u32_e32 v6, vcc_lo, s9, v6, vcc_lo
	s_clause 0x1
	global_load_b128 v[31:34], v[31:32], off offset:952
	global_load_b128 v[35:38], v[5:6], off offset:952
	v_mad_co_u64_u32 v[5:6], null, s16, v0, 0
	ds_load_u16 v56, v9 offset:1360
	ds_load_u16 v57, v9 offset:1190
	;; [unrolled: 1-line block ×14, first 2 shown]
	ds_load_u16 v70, v8
	v_mad_co_u64_u32 v[8:9], null, s16, v12, 0
	v_mad_co_u64_u32 v[45:46], null, s17, v0, v[6:7]
	v_mov_b32_e32 v0, v40
	s_delay_alu instid0(VALU_DEP_3) | instskip(SKIP_1) | instid1(VALU_DEP_3)
	v_mad_co_u64_u32 v[46:47], null, s17, v12, v[9:10]
	v_dual_mov_b32 v9, v44 :: v_dual_mov_b32 v6, v42
	v_mad_co_u64_u32 v[47:48], null, s17, v48, v[0:1]
	v_add_co_u32 v0, vcc_lo, s6, v3
	s_wait_alu 0xfffd
	v_add_co_ci_u32_e32 v40, vcc_lo, s7, v4, vcc_lo
	v_mad_u32_u24 v10, 0x3fc, v51, v10
	s_delay_alu instid0(VALU_DEP_3) | instskip(SKIP_1) | instid1(VALU_DEP_3)
	v_add_co_u32 v74, vcc_lo, v0, v1
	s_wait_alu 0xfffd
	v_add_co_ci_u32_e32 v75, vcc_lo, v40, v2, vcc_lo
	v_mov_b32_e32 v40, v47
	v_mad_co_u64_u32 v[48:49], null, s17, v49, v[6:7]
	v_mad_co_u64_u32 v[49:50], null, s17, v50, v[9:10]
	;; [unrolled: 1-line block ×3, first 2 shown]
	v_add_nc_u32_e32 v12, 0xff, v10
	v_dual_mov_b32 v6, v45 :: v_dual_add_nc_u32 v71, 0x1fe, v10
	v_dual_mov_b32 v42, v48 :: v_dual_add_nc_u32 v73, 0x3fc, v10
	v_mov_b32_e32 v44, v49
	s_delay_alu instid0(VALU_DEP_4) | instskip(SKIP_3) | instid1(VALU_DEP_3)
	v_mad_co_u64_u32 v[3:4], null, s16, v12, 0
	v_dual_mov_b32 v9, v46 :: v_dual_mov_b32 v2, v51
	v_lshlrev_b64_e32 v[0:1], 2, v[5:6]
	v_mad_co_u64_u32 v[45:46], null, s16, v71, 0
	v_lshlrev_b64_e32 v[5:6], 2, v[8:9]
	v_lshlrev_b64_e32 v[8:9], 2, v[39:40]
	;; [unrolled: 1-line block ×4, first 2 shown]
	v_mad_co_u64_u32 v[43:44], null, s17, v10, v[2:3]
	v_add_nc_u32_e32 v72, 0x2fd, v10
	v_mov_b32_e32 v2, v4
	v_add_co_u32 v0, vcc_lo, v74, v0
	s_wait_alu 0xfffd
	v_add_co_ci_u32_e32 v1, vcc_lo, v75, v1, vcc_lo
	v_mad_co_u64_u32 v[52:53], null, s16, v72, 0
	v_mov_b32_e32 v4, v46
	v_add_co_u32 v5, vcc_lo, v74, v5
	v_mov_b32_e32 v51, v43
	v_mad_co_u64_u32 v[46:47], null, s17, v12, v[2:3]
	s_delay_alu instid0(VALU_DEP_3) | instskip(SKIP_1) | instid1(VALU_DEP_4)
	v_mad_co_u64_u32 v[47:48], null, s17, v71, v[4:5]
	v_mov_b32_e32 v10, v53
	v_lshlrev_b64_e32 v[43:44], 2, v[50:51]
	s_wait_alu 0xfffd
	v_add_co_ci_u32_e32 v6, vcc_lo, v75, v6, vcc_lo
	v_mov_b32_e32 v4, v46
	v_mad_co_u64_u32 v[48:49], null, s17, v72, v[10:11]
	v_mov_b32_e32 v46, v47
	v_add_co_u32 v8, vcc_lo, v74, v8
	s_delay_alu instid0(VALU_DEP_4)
	v_lshlrev_b64_e32 v[2:3], 2, v[3:4]
	s_wait_alu 0xfffd
	v_add_co_ci_u32_e32 v9, vcc_lo, v75, v9, vcc_lo
	v_add_co_u32 v39, vcc_lo, v74, v39
	v_mad_co_u64_u32 v[54:55], null, s16, v73, 0
	s_wait_alu 0xfffd
	v_add_co_ci_u32_e32 v40, vcc_lo, v75, v40, vcc_lo
	v_add_co_u32 v41, vcc_lo, v74, v41
	s_wait_alu 0xfffd
	v_add_co_ci_u32_e32 v42, vcc_lo, v75, v42, vcc_lo
	v_add_co_u32 v43, vcc_lo, v74, v43
	s_wait_alu 0xfffd
	v_add_co_ci_u32_e32 v44, vcc_lo, v75, v44, vcc_lo
	v_lshlrev_b64_e32 v[45:46], 2, v[45:46]
	v_add_co_u32 v2, vcc_lo, v74, v2
	s_wait_alu 0xfffd
	v_add_co_ci_u32_e32 v3, vcc_lo, v75, v3, vcc_lo
	s_wait_loadcnt 0x2
	v_lshrrev_b32_e32 v4, 16, v27
	v_lshrrev_b32_e32 v10, 16, v28
	;; [unrolled: 1-line block ×4, first 2 shown]
	s_delay_alu instid0(VALU_DEP_4) | instskip(NEXT) | instid1(VALU_DEP_4)
	v_mul_f16_e32 v50, v23, v4
	v_mul_f16_e32 v49, v26, v10
	s_delay_alu instid0(VALU_DEP_4) | instskip(NEXT) | instid1(VALU_DEP_4)
	v_mul_f16_e32 v51, v25, v12
	v_mul_f16_e32 v53, v24, v47
	s_wait_dscnt 0xe
	v_mul_f16_e32 v10, v56, v10
	s_wait_dscnt 0x5
	v_mul_f16_e32 v12, v65, v12
	v_mul_f16_e32 v4, v59, v4
	;; [unrolled: 1-line block ×3, first 2 shown]
	s_wait_loadcnt 0x1
	v_lshrrev_b32_e32 v71, 16, v31
	v_lshrrev_b32_e32 v72, 16, v32
	;; [unrolled: 1-line block ×4, first 2 shown]
	v_fma_f16 v49, v56, v28, -v49
	v_fma_f16 v50, v59, v27, -v50
	;; [unrolled: 1-line block ×4, first 2 shown]
	v_fmac_f16_e32 v10, v26, v28
	v_fmac_f16_e32 v12, v25, v29
	;; [unrolled: 1-line block ×4, first 2 shown]
	v_mul_f16_e32 v23, v20, v72
	v_mul_f16_e32 v24, v19, v71
	;; [unrolled: 1-line block ×5, first 2 shown]
	s_wait_dscnt 0x4
	v_mul_f16_e32 v28, v66, v76
	v_mul_f16_e32 v29, v60, v71
	;; [unrolled: 1-line block ×3, first 2 shown]
	s_wait_loadcnt 0x0
	v_lshrrev_b32_e32 v56, 16, v35
	v_lshrrev_b32_e32 v59, 16, v36
	v_lshrrev_b32_e32 v62, 16, v37
	v_lshrrev_b32_e32 v65, 16, v38
	v_sub_f16_e32 v71, v49, v50
	v_sub_f16_e32 v72, v51, v53
	v_add_f16_e32 v77, v50, v53
	v_sub_f16_e32 v78, v4, v47
	v_sub_f16_e32 v79, v50, v49
	;; [unrolled: 1-line block ×3, first 2 shown]
	v_add_f16_e32 v81, v49, v51
	s_wait_dscnt 0x2
	v_add_f16_e32 v82, v50, v68
	v_sub_f16_e32 v83, v10, v4
	v_sub_f16_e32 v84, v12, v47
	v_add_f16_e32 v85, v4, v47
	v_sub_f16_e32 v87, v4, v10
	v_sub_f16_e32 v88, v47, v12
	v_add_f16_e32 v4, v18, v4
	v_fma_f16 v23, v57, v32, -v23
	v_fma_f16 v24, v60, v31, -v24
	;; [unrolled: 1-line block ×4, first 2 shown]
	v_fmac_f16_e32 v27, v20, v32
	v_fmac_f16_e32 v28, v21, v33
	;; [unrolled: 1-line block ×4, first 2 shown]
	v_mul_f16_e32 v19, v15, v56
	v_mul_f16_e32 v20, v14, v59
	;; [unrolled: 1-line block ×8, first 2 shown]
	v_sub_f16_e32 v76, v10, v12
	v_sub_f16_e32 v86, v49, v51
	v_add_f16_e32 v89, v10, v12
	v_add_f16_e32 v56, v71, v72
	v_fma_f16 v57, -0.5, v77, v68
	v_add_f16_e32 v59, v79, v80
	v_fma_f16 v60, -0.5, v81, v68
	v_add_f16_e32 v49, v49, v82
	v_add_f16_e32 v62, v83, v84
	v_fma_f16 v63, -0.5, v85, v18
	v_add_f16_e32 v65, v87, v88
	v_add_f16_e32 v4, v10, v4
	v_sub_f16_e32 v10, v23, v24
	v_add_f16_e32 v71, v24, v26
	v_sub_f16_e32 v72, v29, v30
	v_sub_f16_e32 v77, v27, v29
	;; [unrolled: 1-line block ×3, first 2 shown]
	v_add_f16_e32 v81, v29, v30
	v_sub_f16_e32 v83, v24, v23
	v_add_f16_e32 v85, v23, v25
	v_sub_f16_e32 v87, v29, v27
	s_wait_dscnt 0x1
	v_add_f16_e32 v24, v24, v69
	v_add_f16_e32 v29, v13, v29
	v_fma_f16 v19, v61, v35, -v19
	v_fma_f16 v20, v58, v36, -v20
	;; [unrolled: 1-line block ×4, first 2 shown]
	v_fmac_f16_e32 v33, v14, v36
	v_fmac_f16_e32 v34, v16, v37
	v_sub_f16_e32 v66, v25, v26
	v_sub_f16_e32 v84, v26, v25
	;; [unrolled: 1-line block ×3, first 2 shown]
	v_fmac_f16_e32 v31, v15, v35
	v_fmac_f16_e32 v32, v17, v38
	v_sub_f16_e32 v79, v28, v30
	v_fma_f16 v18, -0.5, v89, v18
	v_sub_f16_e32 v68, v27, v28
	v_sub_f16_e32 v82, v23, v25
	v_add_f16_e32 v89, v27, v28
	v_add_f16_e32 v16, v51, v49
	;; [unrolled: 1-line block ×3, first 2 shown]
	v_fma_f16 v12, -0.5, v71, v69
	v_fma_f16 v49, -0.5, v85, v69
	v_add_f16_e32 v23, v23, v24
	v_add_f16_e32 v24, v27, v29
	v_sub_f16_e32 v27, v19, v20
	v_sub_f16_e32 v29, v21, v22
	v_add_f16_e32 v58, v20, v22
	v_add_f16_e32 v69, v33, v34
	;; [unrolled: 1-line block ×5, first 2 shown]
	v_sub_f16_e32 v66, v31, v33
	v_sub_f16_e32 v67, v32, v34
	v_add_f16_e32 v83, v19, v21
	v_add_f16_e32 v87, v31, v32
	v_sub_f16_e32 v50, v50, v53
	v_fmamk_f16 v17, v86, 0xbb9c, v63
	v_fmac_f16_e32 v63, 0x3b9c, v86
	v_add_f16_e32 v36, v77, v79
	v_sub_f16_e32 v61, v31, v32
	v_sub_f16_e32 v71, v19, v21
	;; [unrolled: 1-line block ×4, first 2 shown]
	s_wait_dscnt 0x0
	v_add_f16_e32 v19, v19, v70
	v_add_f16_e32 v31, v11, v31
	;; [unrolled: 1-line block ×5, first 2 shown]
	v_fma_f16 v27, -0.5, v58, v70
	v_fma_f16 v29, -0.5, v69, v11
	v_sub_f16_e32 v64, v33, v34
	v_sub_f16_e32 v77, v20, v22
	v_add_f16_e32 v28, v66, v67
	v_fma_f16 v66, -0.5, v83, v70
	v_fma_f16 v11, -0.5, v87, v11
	v_fmamk_f16 v35, v50, 0x3b9c, v18
	v_fmac_f16_e32 v18, 0xbb9c, v50
	v_fmac_f16_e32 v17, 0x38b4, v50
	;; [unrolled: 1-line block ×3, first 2 shown]
	v_fmamk_f16 v50, v68, 0x3b9c, v12
	v_fmac_f16_e32 v12, 0xbb9c, v68
	v_add_f16_e32 v19, v20, v19
	v_add_f16_e32 v20, v31, v33
	;; [unrolled: 1-line block ×4, first 2 shown]
	v_fmamk_f16 v26, v61, 0xbb9c, v27
	v_fmamk_f16 v30, v71, 0x3b9c, v29
	v_fmac_f16_e32 v27, 0x3b9c, v61
	v_fmac_f16_e32 v29, 0xbb9c, v71
	v_fma_f16 v37, -0.5, v81, v13
	v_fma_f16 v13, -0.5, v89, v13
	v_sub_f16_e32 v81, v22, v21
	v_sub_f16_e32 v85, v34, v32
	v_fmamk_f16 v31, v64, 0x3b9c, v66
	v_fmamk_f16 v33, v77, 0xbb9c, v11
	v_fmac_f16_e32 v66, 0xbb9c, v64
	v_fmac_f16_e32 v11, 0x3b9c, v77
	;; [unrolled: 1-line block ×4, first 2 shown]
	v_add_f16_e32 v19, v22, v19
	v_add_f16_e32 v20, v20, v34
	v_fmac_f16_e32 v27, 0x38b4, v64
	v_fmac_f16_e32 v29, 0xb8b4, v77
	v_add_f16_e32 v16, v53, v16
	v_add_f16_e32 v47, v4, v47
	v_fmamk_f16 v4, v72, 0x3b9c, v49
	v_fmamk_f16 v53, v80, 0xbb9c, v13
	v_add_f16_e32 v58, v79, v81
	v_add_f16_e32 v67, v84, v85
	v_fmac_f16_e32 v66, 0x38b4, v61
	v_fmac_f16_e32 v11, 0xb8b4, v71
	;; [unrolled: 1-line block ×8, first 2 shown]
	v_add_f16_e32 v10, v21, v19
	v_add_f16_e32 v19, v32, v20
	v_fmac_f16_e32 v27, 0x34f2, v25
	v_fmac_f16_e32 v29, 0x34f2, v28
	;; [unrolled: 1-line block ×6, first 2 shown]
	v_fmamk_f16 v15, v78, 0xbb9c, v60
	v_fmac_f16_e32 v60, 0x3b9c, v78
	v_fmac_f16_e32 v31, 0x34f2, v58
	;; [unrolled: 1-line block ×5, first 2 shown]
	v_pack_b32_f16 v10, v19, v10
	v_pack_b32_f16 v19, v29, v27
	v_fmac_f16_e32 v4, 0x34f2, v38
	v_fmac_f16_e32 v53, 0x34f2, v51
	v_pack_b32_f16 v11, v11, v66
	v_fmamk_f16 v14, v76, 0x3b9c, v57
	v_fmac_f16_e32 v57, 0xbb9c, v76
	v_fmac_f16_e32 v15, 0xb8b4, v76
	;; [unrolled: 1-line block ×3, first 2 shown]
	v_fmamk_f16 v76, v82, 0xbb9c, v37
	v_fmac_f16_e32 v37, 0x3b9c, v82
	v_pack_b32_f16 v21, v33, v31
	v_pack_b32_f16 v22, v30, v26
	;; [unrolled: 1-line block ×3, first 2 shown]
	s_clause 0x5
	global_store_b32 v[0:1], v10, off
	global_store_b32 v[5:6], v19, off
	;; [unrolled: 1-line block ×6, first 2 shown]
	v_mul_hi_u32 v10, 0x80808081, v7
	v_pack_b32_f16 v6, v53, v4
	v_dual_mov_b32 v53, v48 :: v_dual_mov_b32 v0, v55
	v_fmac_f16_e32 v37, 0xb8b4, v80
	v_fmac_f16_e32 v76, 0x38b4, v80
	v_add_co_u32 v4, vcc_lo, v74, v45
	s_delay_alu instid0(VALU_DEP_4)
	v_lshlrev_b64_e32 v[8:9], 2, v[52:53]
	v_mad_co_u64_u32 v[0:1], null, s17, v73, v[0:1]
	v_fmac_f16_e32 v37, 0x34f2, v36
	v_lshrrev_b32_e32 v1, 7, v10
	v_fmac_f16_e32 v76, 0x34f2, v36
	s_wait_alu 0xfffd
	v_add_co_ci_u32_e32 v5, vcc_lo, v75, v46, vcc_lo
	v_pack_b32_f16 v11, v37, v12
	v_add_co_u32 v8, vcc_lo, v74, v8
	v_mad_u32_u24 v12, 0x3fc, v1, v7
	s_wait_alu 0xfffd
	v_add_co_ci_u32_e32 v9, vcc_lo, v75, v9, vcc_lo
	v_pack_b32_f16 v10, v76, v50
	s_clause 0x2
	global_store_b32 v[2:3], v6, off
	global_store_b32 v[4:5], v11, off
	;; [unrolled: 1-line block ×3, first 2 shown]
	v_add_nc_u32_e32 v10, 0xff, v12
	v_add_nc_u32_e32 v19, 0x1fe, v12
	v_mad_co_u64_u32 v[2:3], null, s16, v12, 0
	v_fmac_f16_e32 v49, 0xbb9c, v72
	s_delay_alu instid0(VALU_DEP_4) | instskip(SKIP_4) | instid1(VALU_DEP_4)
	v_mad_co_u64_u32 v[4:5], null, s16, v10, 0
	v_fmac_f16_e32 v13, 0x3b9c, v80
	v_mov_b32_e32 v55, v0
	v_mad_co_u64_u32 v[6:7], null, s16, v19, 0
	v_fmac_f16_e32 v49, 0xb8b4, v68
	v_fmac_f16_e32 v13, 0x38b4, v82
	s_delay_alu instid0(VALU_DEP_4)
	v_lshlrev_b64_e32 v[0:1], 2, v[54:55]
	v_mad_co_u64_u32 v[8:9], null, s17, v12, v[3:4]
	v_add_nc_u32_e32 v20, 0x2fd, v12
	v_fmac_f16_e32 v49, 0x34f2, v38
	v_fmac_f16_e32 v13, 0x34f2, v51
	v_mad_co_u64_u32 v[9:10], null, s17, v10, v[5:6]
	v_mov_b32_e32 v5, v7
	v_mad_co_u64_u32 v[10:11], null, s16, v20, 0
	v_add_co_u32 v0, vcc_lo, v74, v0
	v_add_nc_u32_e32 v12, 0x3fc, v12
	s_wait_alu 0xfffd
	v_add_co_ci_u32_e32 v1, vcc_lo, v75, v1, vcc_lo
	v_pack_b32_f16 v13, v13, v49
	v_mov_b32_e32 v3, v8
	v_mad_co_u64_u32 v[7:8], null, s17, v19, v[5:6]
	v_mov_b32_e32 v5, v9
	v_mad_co_u64_u32 v[8:9], null, s16, v12, 0
	global_store_b32 v[0:1], v13, off
	v_lshlrev_b64_e32 v[0:1], 2, v[2:3]
	v_mov_b32_e32 v2, v11
	v_lshlrev_b64_e32 v[4:5], 2, v[4:5]
	v_lshlrev_b64_e32 v[6:7], 2, v[6:7]
	v_fmac_f16_e32 v18, 0xb8b4, v86
	v_fmac_f16_e32 v57, 0x38b4, v78
	v_mad_co_u64_u32 v[2:3], null, s17, v20, v[2:3]
	v_mov_b32_e32 v3, v9
	v_add_co_u32 v0, vcc_lo, v74, v0
	s_wait_alu 0xfffd
	v_add_co_ci_u32_e32 v1, vcc_lo, v75, v1, vcc_lo
	s_delay_alu instid0(VALU_DEP_3)
	v_mad_co_u64_u32 v[12:13], null, s17, v12, v[3:4]
	v_mov_b32_e32 v11, v2
	v_add_co_u32 v2, vcc_lo, v74, v4
	v_fmac_f16_e32 v14, 0xb8b4, v78
	s_wait_alu 0xfffd
	v_add_co_ci_u32_e32 v3, vcc_lo, v75, v5, vcc_lo
	v_mov_b32_e32 v9, v12
	v_lshlrev_b64_e32 v[4:5], 2, v[10:11]
	v_fmac_f16_e32 v35, 0x38b4, v86
	v_fmac_f16_e32 v60, 0x34f2, v59
	;; [unrolled: 1-line block ×3, first 2 shown]
	v_add_co_u32 v6, vcc_lo, v74, v6
	v_lshlrev_b64_e32 v[8:9], 2, v[8:9]
	v_fmac_f16_e32 v57, 0x34f2, v56
	v_fmac_f16_e32 v63, 0x34f2, v62
	;; [unrolled: 1-line block ×4, first 2 shown]
	s_wait_alu 0xfffd
	v_add_co_ci_u32_e32 v7, vcc_lo, v75, v7, vcc_lo
	v_fmac_f16_e32 v15, 0x34f2, v59
	v_fmac_f16_e32 v35, 0x34f2, v65
	v_add_co_u32 v4, vcc_lo, v74, v4
	v_pack_b32_f16 v16, v47, v16
	v_pack_b32_f16 v13, v18, v60
	s_wait_alu 0xfffd
	v_add_co_ci_u32_e32 v5, vcc_lo, v75, v5, vcc_lo
	v_pack_b32_f16 v10, v63, v57
	v_add_co_u32 v8, vcc_lo, v74, v8
	v_pack_b32_f16 v11, v17, v14
	s_wait_alu 0xfffd
	v_add_co_ci_u32_e32 v9, vcc_lo, v75, v9, vcc_lo
	v_pack_b32_f16 v12, v35, v15
	s_clause 0x4
	global_store_b32 v[0:1], v16, off
	global_store_b32 v[2:3], v13, off
	;; [unrolled: 1-line block ×5, first 2 shown]
.LBB0_16:
	s_nop 0
	s_sendmsg sendmsg(MSG_DEALLOC_VGPRS)
	s_endpgm
	.section	.rodata,"a",@progbits
	.p2align	6, 0x0
	.amdhsa_kernel fft_rtc_back_len1275_factors_17_3_5_5_wgs_255_tpt_85_halfLds_half_op_CI_CI_sbrr_dirReg
		.amdhsa_group_segment_fixed_size 0
		.amdhsa_private_segment_fixed_size 0
		.amdhsa_kernarg_size 104
		.amdhsa_user_sgpr_count 2
		.amdhsa_user_sgpr_dispatch_ptr 0
		.amdhsa_user_sgpr_queue_ptr 0
		.amdhsa_user_sgpr_kernarg_segment_ptr 1
		.amdhsa_user_sgpr_dispatch_id 0
		.amdhsa_user_sgpr_private_segment_size 0
		.amdhsa_wavefront_size32 1
		.amdhsa_uses_dynamic_stack 0
		.amdhsa_enable_private_segment 0
		.amdhsa_system_sgpr_workgroup_id_x 1
		.amdhsa_system_sgpr_workgroup_id_y 0
		.amdhsa_system_sgpr_workgroup_id_z 0
		.amdhsa_system_sgpr_workgroup_info 0
		.amdhsa_system_vgpr_workitem_id 0
		.amdhsa_next_free_vgpr 92
		.amdhsa_next_free_sgpr 43
		.amdhsa_reserve_vcc 1
		.amdhsa_float_round_mode_32 0
		.amdhsa_float_round_mode_16_64 0
		.amdhsa_float_denorm_mode_32 3
		.amdhsa_float_denorm_mode_16_64 3
		.amdhsa_fp16_overflow 0
		.amdhsa_workgroup_processor_mode 1
		.amdhsa_memory_ordered 1
		.amdhsa_forward_progress 0
		.amdhsa_round_robin_scheduling 0
		.amdhsa_exception_fp_ieee_invalid_op 0
		.amdhsa_exception_fp_denorm_src 0
		.amdhsa_exception_fp_ieee_div_zero 0
		.amdhsa_exception_fp_ieee_overflow 0
		.amdhsa_exception_fp_ieee_underflow 0
		.amdhsa_exception_fp_ieee_inexact 0
		.amdhsa_exception_int_div_zero 0
	.end_amdhsa_kernel
	.text
.Lfunc_end0:
	.size	fft_rtc_back_len1275_factors_17_3_5_5_wgs_255_tpt_85_halfLds_half_op_CI_CI_sbrr_dirReg, .Lfunc_end0-fft_rtc_back_len1275_factors_17_3_5_5_wgs_255_tpt_85_halfLds_half_op_CI_CI_sbrr_dirReg
                                        ; -- End function
	.section	.AMDGPU.csdata,"",@progbits
; Kernel info:
; codeLenInByte = 13612
; NumSgprs: 45
; NumVgprs: 92
; ScratchSize: 0
; MemoryBound: 0
; FloatMode: 240
; IeeeMode: 1
; LDSByteSize: 0 bytes/workgroup (compile time only)
; SGPRBlocks: 5
; VGPRBlocks: 11
; NumSGPRsForWavesPerEU: 45
; NumVGPRsForWavesPerEU: 92
; Occupancy: 16
; WaveLimiterHint : 1
; COMPUTE_PGM_RSRC2:SCRATCH_EN: 0
; COMPUTE_PGM_RSRC2:USER_SGPR: 2
; COMPUTE_PGM_RSRC2:TRAP_HANDLER: 0
; COMPUTE_PGM_RSRC2:TGID_X_EN: 1
; COMPUTE_PGM_RSRC2:TGID_Y_EN: 0
; COMPUTE_PGM_RSRC2:TGID_Z_EN: 0
; COMPUTE_PGM_RSRC2:TIDIG_COMP_CNT: 0
	.text
	.p2alignl 7, 3214868480
	.fill 96, 4, 3214868480
	.type	__hip_cuid_c42e11ecec501800,@object ; @__hip_cuid_c42e11ecec501800
	.section	.bss,"aw",@nobits
	.globl	__hip_cuid_c42e11ecec501800
__hip_cuid_c42e11ecec501800:
	.byte	0                               ; 0x0
	.size	__hip_cuid_c42e11ecec501800, 1

	.ident	"AMD clang version 19.0.0git (https://github.com/RadeonOpenCompute/llvm-project roc-6.4.0 25133 c7fe45cf4b819c5991fe208aaa96edf142730f1d)"
	.section	".note.GNU-stack","",@progbits
	.addrsig
	.addrsig_sym __hip_cuid_c42e11ecec501800
	.amdgpu_metadata
---
amdhsa.kernels:
  - .args:
      - .actual_access:  read_only
        .address_space:  global
        .offset:         0
        .size:           8
        .value_kind:     global_buffer
      - .offset:         8
        .size:           8
        .value_kind:     by_value
      - .actual_access:  read_only
        .address_space:  global
        .offset:         16
        .size:           8
        .value_kind:     global_buffer
      - .actual_access:  read_only
        .address_space:  global
        .offset:         24
        .size:           8
        .value_kind:     global_buffer
      - .actual_access:  read_only
        .address_space:  global
        .offset:         32
        .size:           8
        .value_kind:     global_buffer
      - .offset:         40
        .size:           8
        .value_kind:     by_value
      - .actual_access:  read_only
        .address_space:  global
        .offset:         48
        .size:           8
        .value_kind:     global_buffer
      - .actual_access:  read_only
        .address_space:  global
        .offset:         56
        .size:           8
        .value_kind:     global_buffer
      - .offset:         64
        .size:           4
        .value_kind:     by_value
      - .actual_access:  read_only
        .address_space:  global
        .offset:         72
        .size:           8
        .value_kind:     global_buffer
      - .actual_access:  read_only
        .address_space:  global
        .offset:         80
        .size:           8
        .value_kind:     global_buffer
      - .actual_access:  read_only
        .address_space:  global
        .offset:         88
        .size:           8
        .value_kind:     global_buffer
      - .actual_access:  write_only
        .address_space:  global
        .offset:         96
        .size:           8
        .value_kind:     global_buffer
    .group_segment_fixed_size: 0
    .kernarg_segment_align: 8
    .kernarg_segment_size: 104
    .language:       OpenCL C
    .language_version:
      - 2
      - 0
    .max_flat_workgroup_size: 255
    .name:           fft_rtc_back_len1275_factors_17_3_5_5_wgs_255_tpt_85_halfLds_half_op_CI_CI_sbrr_dirReg
    .private_segment_fixed_size: 0
    .sgpr_count:     45
    .sgpr_spill_count: 0
    .symbol:         fft_rtc_back_len1275_factors_17_3_5_5_wgs_255_tpt_85_halfLds_half_op_CI_CI_sbrr_dirReg.kd
    .uniform_work_group_size: 1
    .uses_dynamic_stack: false
    .vgpr_count:     92
    .vgpr_spill_count: 0
    .wavefront_size: 32
    .workgroup_processor_mode: 1
amdhsa.target:   amdgcn-amd-amdhsa--gfx1201
amdhsa.version:
  - 1
  - 2
...

	.end_amdgpu_metadata
